;; amdgpu-corpus repo=ROCm/rocFFT kind=compiled arch=gfx906 opt=O3
	.text
	.amdgcn_target "amdgcn-amd-amdhsa--gfx906"
	.amdhsa_code_object_version 6
	.protected	bluestein_single_back_len2700_dim1_half_op_CI_CI ; -- Begin function bluestein_single_back_len2700_dim1_half_op_CI_CI
	.globl	bluestein_single_back_len2700_dim1_half_op_CI_CI
	.p2align	8
	.type	bluestein_single_back_len2700_dim1_half_op_CI_CI,@function
bluestein_single_back_len2700_dim1_half_op_CI_CI: ; @bluestein_single_back_len2700_dim1_half_op_CI_CI
; %bb.0:
	s_load_dwordx4 s[16:19], s[4:5], 0x28
	v_mul_u32_u24_e32 v1, 0x2d9, v0
	v_add_u32_sdwa v48, s6, v1 dst_sel:DWORD dst_unused:UNUSED_PAD src0_sel:DWORD src1_sel:WORD_1
	v_mov_b32_e32 v49, 0
	s_waitcnt lgkmcnt(0)
	v_cmp_gt_u64_e32 vcc, s[16:17], v[48:49]
	s_and_saveexec_b64 s[0:1], vcc
	s_cbranch_execz .LBB0_2
; %bb.1:
	s_load_dwordx4 s[8:11], s[4:5], 0x18
	s_load_dwordx4 s[0:3], s[4:5], 0x0
	s_movk_i32 s6, 0x5a
	v_mul_lo_u16_sdwa v1, v1, s6 dst_sel:DWORD dst_unused:UNUSED_PAD src0_sel:WORD_1 src1_sel:DWORD
	v_sub_u16_e32 v130, v0, v1
	s_waitcnt lgkmcnt(0)
	s_load_dwordx4 s[12:15], s[8:9], 0x0
	v_lshlrev_b32_e32 v134, 2, v130
	global_load_dword v133, v134, s[0:1]
	v_add_u32_e32 v137, 0xe00, v134
	v_add_u32_e32 v135, 0x1c00, v134
	s_waitcnt lgkmcnt(0)
	v_mad_u64_u32 v[0:1], s[8:9], s14, v48, 0
	v_mad_u64_u32 v[2:3], s[8:9], s12, v130, 0
	s_mul_i32 s7, s13, 0xe10
	s_mul_i32 s14, s12, 0xe10
	v_mad_u64_u32 v[4:5], s[8:9], s15, v48, v[1:2]
	v_add_u32_e32 v132, 0x200, v134
	v_add_u32_e32 v128, 0x1000, v134
	v_mad_u64_u32 v[5:6], s[8:9], s13, v130, v[3:4]
	v_mov_b32_e32 v1, v4
	v_lshlrev_b64 v[0:1], 2, v[0:1]
	v_mov_b32_e32 v6, s19
	v_mov_b32_e32 v3, v5
	v_add_co_u32_e32 v4, vcc, s18, v0
	v_addc_co_u32_e32 v5, vcc, v6, v1, vcc
	v_lshlrev_b64 v[0:1], 2, v[2:3]
	v_mov_b32_e32 v2, s1
	v_add_co_u32_e32 v0, vcc, v4, v0
	v_addc_co_u32_e32 v1, vcc, v5, v1, vcc
	v_add_co_u32_e32 v140, vcc, s0, v134
	s_mul_hi_u32 s8, s12, 0xe10
	global_load_dword v4, v[0:1], off
	v_addc_co_u32_e32 v141, vcc, 0, v2, vcc
	s_add_i32 s7, s8, s7
	v_mov_b32_e32 v2, s7
	v_add_co_u32_e32 v0, vcc, s14, v0
	v_addc_co_u32_e32 v1, vcc, v1, v2, vcc
	global_load_dword v5, v[0:1], off
	global_load_dword v129, v134, s[0:1] offset:3600
	v_add_co_u32_e32 v0, vcc, s14, v0
	v_addc_co_u32_e32 v1, vcc, v1, v2, vcc
	s_movk_i32 s8, 0x1000
	v_add_co_u32_e32 v2, vcc, s8, v140
	global_load_dword v6, v[0:1], off
	v_addc_co_u32_e32 v3, vcc, 0, v141, vcc
	global_load_dword v127, v[2:3], off offset:3104
	s_mul_hi_u32 s9, s12, 0xffffe548
	s_mul_i32 s8, s13, 0xffffe548
	s_sub_i32 s13, s9, s12
	s_add_i32 s13, s13, s8
	s_mulk_i32 s12, 0xe548
	v_mov_b32_e32 v7, s13
	v_add_co_u32_e32 v0, vcc, s12, v0
	v_addc_co_u32_e32 v1, vcc, v1, v7, vcc
	global_load_dword v7, v[0:1], off
	global_load_dword v126, v134, s[0:1] offset:360
	v_mov_b32_e32 v8, s7
	v_add_co_u32_e32 v0, vcc, s14, v0
	v_addc_co_u32_e32 v1, vcc, v1, v8, vcc
	global_load_dword v8, v[0:1], off
	global_load_dword v124, v134, s[0:1] offset:3960
	v_mov_b32_e32 v9, s7
	v_add_co_u32_e32 v0, vcc, s14, v0
	v_addc_co_u32_e32 v1, vcc, v1, v9, vcc
	global_load_dword v9, v[0:1], off
	global_load_dword v123, v[2:3], off offset:3464
	v_mov_b32_e32 v10, s13
	v_add_co_u32_e32 v0, vcc, s12, v0
	v_addc_co_u32_e32 v1, vcc, v1, v10, vcc
	s_load_dwordx4 s[8:11], s[10:11], 0x0
	global_load_dword v120, v134, s[0:1] offset:720
	global_load_dword v116, v134, s[0:1] offset:1080
	;; [unrolled: 1-line block ×8, first 2 shown]
	global_load_dword v10, v[0:1], off
	v_add_co_u32_e32 v0, vcc, s14, v0
	global_load_dword v122, v[2:3], off offset:3824
	global_load_dword v125, v[2:3], off offset:224
	s_movk_i32 s0, 0x2000
	v_mov_b32_e32 v16, s13
	v_add_u32_e32 v115, 0x2000, v134
	v_add_u32_e32 v118, 0x400, v134
	;; [unrolled: 1-line block ×13, first 2 shown]
	s_mov_b32 s1, 0xbaee
	v_add_u32_e32 v79, 0x168, v130
	v_add_u32_e32 v81, 0x1c2, v130
	s_movk_i32 s15, 0x3a79
	s_mov_b32 s16, 0xaaab
	s_load_dwordx2 s[4:5], s[4:5], 0x38
	s_waitcnt vmcnt(21)
	v_lshrrev_b32_e32 v11, 16, v4
	v_mul_f16_sdwa v12, v133, v4 dst_sel:DWORD dst_unused:UNUSED_PAD src0_sel:WORD_1 src1_sel:DWORD
	v_mul_f16_sdwa v13, v133, v11 dst_sel:DWORD dst_unused:UNUSED_PAD src0_sel:WORD_1 src1_sel:DWORD
	v_fma_f16 v11, v133, v11, -v12
	v_fma_f16 v4, v133, v4, v13
	v_pack_b32_f16 v4, v4, v11
	v_mov_b32_e32 v13, s13
	s_waitcnt vmcnt(20)
	v_lshrrev_b32_e32 v12, 16, v5
	s_waitcnt vmcnt(19)
	v_mul_f16_sdwa v11, v129, v12 dst_sel:DWORD dst_unused:UNUSED_PAD src0_sel:WORD_1 src1_sel:DWORD
	v_fma_f16 v11, v129, v5, v11
	v_mul_f16_sdwa v5, v129, v5 dst_sel:DWORD dst_unused:UNUSED_PAD src0_sel:WORD_1 src1_sel:DWORD
	v_fma_f16 v5, v129, v12, -v5
	v_pack_b32_f16 v5, v11, v5
	ds_write_b32 v134, v5 offset:3600
	v_mov_b32_e32 v12, s7
	s_waitcnt vmcnt(18)
	v_lshrrev_b32_e32 v5, 16, v6
	s_waitcnt vmcnt(17)
	v_mul_f16_sdwa v11, v127, v5 dst_sel:DWORD dst_unused:UNUSED_PAD src0_sel:WORD_1 src1_sel:DWORD
	v_fma_f16 v11, v127, v6, v11
	v_mul_f16_sdwa v6, v127, v6 dst_sel:DWORD dst_unused:UNUSED_PAD src0_sel:WORD_1 src1_sel:DWORD
	v_fma_f16 v5, v127, v5, -v6
	v_mov_b32_e32 v6, s7
	v_addc_co_u32_e32 v1, vcc, v1, v6, vcc
	v_pack_b32_f16 v5, v11, v5
	global_load_dword v6, v[0:1], off
	ds_write_b32 v134, v5 offset:7200
	s_waitcnt vmcnt(17)
	v_lshrrev_b32_e32 v5, 16, v7
	s_waitcnt vmcnt(16)
	v_mul_f16_sdwa v11, v126, v5 dst_sel:DWORD dst_unused:UNUSED_PAD src0_sel:WORD_1 src1_sel:DWORD
	v_fma_f16 v11, v126, v7, v11
	v_mul_f16_sdwa v7, v126, v7 dst_sel:DWORD dst_unused:UNUSED_PAD src0_sel:WORD_1 src1_sel:DWORD
	v_fma_f16 v5, v126, v5, -v7
	v_pack_b32_f16 v5, v11, v5
	ds_write2_b32 v134, v4, v5 offset1:90
	s_waitcnt vmcnt(15)
	v_lshrrev_b32_e32 v4, 16, v8
	s_waitcnt vmcnt(14)
	v_mul_f16_sdwa v5, v124, v4 dst_sel:DWORD dst_unused:UNUSED_PAD src0_sel:WORD_1 src1_sel:DWORD
	v_fma_f16 v5, v124, v8, v5
	v_mul_f16_sdwa v8, v124, v8 dst_sel:DWORD dst_unused:UNUSED_PAD src0_sel:WORD_1 src1_sel:DWORD
	v_mov_b32_e32 v7, s7
	v_add_co_u32_e32 v0, vcc, s14, v0
	v_fma_f16 v4, v124, v4, -v8
	v_addc_co_u32_e32 v1, vcc, v1, v7, vcc
	v_pack_b32_f16 v4, v5, v4
	s_waitcnt vmcnt(13)
	v_lshrrev_b32_e32 v5, 16, v9
	global_load_dword v7, v[0:1], off
	s_waitcnt vmcnt(13)
	v_mul_f16_sdwa v8, v123, v5 dst_sel:DWORD dst_unused:UNUSED_PAD src0_sel:WORD_1 src1_sel:DWORD
	v_fma_f16 v8, v123, v9, v8
	v_mul_f16_sdwa v9, v123, v9 dst_sel:DWORD dst_unused:UNUSED_PAD src0_sel:WORD_1 src1_sel:DWORD
	v_fma_f16 v5, v123, v5, -v9
	v_mov_b32_e32 v9, s13
	v_add_co_u32_e32 v0, vcc, s12, v0
	v_addc_co_u32_e32 v1, vcc, v1, v9, vcc
	global_load_dword v9, v[0:1], off
	v_mov_b32_e32 v11, s7
	v_add_co_u32_e32 v0, vcc, s14, v0
	v_addc_co_u32_e32 v1, vcc, v1, v11, vcc
	global_load_dword v11, v[0:1], off
	global_load_dword v119, v[2:3], off offset:584
	v_add_co_u32_e32 v0, vcc, s14, v0
	v_addc_co_u32_e32 v1, vcc, v1, v12, vcc
	v_add_co_u32_e32 v53, vcc, s0, v140
	global_load_dword v12, v[0:1], off
	v_addc_co_u32_e32 v54, vcc, 0, v141, vcc
	global_load_dword v117, v[53:54], off offset:88
	v_add_co_u32_e32 v0, vcc, s12, v0
	v_addc_co_u32_e32 v1, vcc, v1, v13, vcc
	global_load_dword v13, v[0:1], off
	v_pack_b32_f16 v5, v8, v5
	s_waitcnt vmcnt(10)
	v_lshrrev_b32_e32 v8, 16, v10
	v_mul_f16_sdwa v14, v120, v8 dst_sel:DWORD dst_unused:UNUSED_PAD src0_sel:WORD_1 src1_sel:DWORD
	v_fma_f16 v14, v120, v10, v14
	v_mul_f16_sdwa v10, v120, v10 dst_sel:DWORD dst_unused:UNUSED_PAD src0_sel:WORD_1 src1_sel:DWORD
	v_fma_f16 v8, v120, v8, -v10
	v_mov_b32_e32 v10, s7
	v_add_co_u32_e32 v0, vcc, s14, v0
	v_addc_co_u32_e32 v1, vcc, v1, v10, vcc
	global_load_dword v10, v[0:1], off
	global_load_dword v114, v[2:3], off offset:944
	v_pack_b32_f16 v8, v14, v8
	v_mov_b32_e32 v14, s7
	v_add_co_u32_e32 v0, vcc, s14, v0
	v_addc_co_u32_e32 v1, vcc, v1, v14, vcc
	global_load_dword v14, v[0:1], off
	global_load_dword v113, v[53:54], off offset:448
	v_add_co_u32_e32 v0, vcc, s12, v0
	v_addc_co_u32_e32 v1, vcc, v1, v16, vcc
	global_load_dword v16, v[0:1], off
	global_load_dword v110, v[2:3], off offset:1304
	global_load_dword v105, v[2:3], off offset:1664
	;; [unrolled: 1-line block ×5, first 2 shown]
	v_add_co_u32_e32 v0, vcc, s14, v0
	s_movk_i32 s0, 0x3aee
	s_waitcnt vmcnt(17)
	v_lshrrev_b32_e32 v15, 16, v6
	v_mul_f16_sdwa v2, v125, v15 dst_sel:DWORD dst_unused:UNUSED_PAD src0_sel:WORD_1 src1_sel:DWORD
	v_mul_f16_sdwa v3, v125, v6 dst_sel:DWORD dst_unused:UNUSED_PAD src0_sel:WORD_1 src1_sel:DWORD
	v_fma_f16 v2, v125, v6, v2
	v_fma_f16 v3, v125, v15, -v3
	v_pack_b32_f16 v2, v2, v3
	ds_write2_b32 v137, v4, v2 offset0:94 offset1:184
	v_mov_b32_e32 v4, s7
	v_addc_co_u32_e32 v1, vcc, v1, v4, vcc
	global_load_dword v4, v[0:1], off
	v_add_co_u32_e32 v0, vcc, s14, v0
	v_mov_b32_e32 v15, s13
	s_waitcnt vmcnt(17)
	v_lshrrev_b32_e32 v2, 16, v7
	v_mul_f16_sdwa v3, v122, v2 dst_sel:DWORD dst_unused:UNUSED_PAD src0_sel:WORD_1 src1_sel:DWORD
	v_mul_f16_sdwa v6, v122, v7 dst_sel:DWORD dst_unused:UNUSED_PAD src0_sel:WORD_1 src1_sel:DWORD
	v_fma_f16 v3, v122, v7, v3
	v_fma_f16 v2, v122, v2, -v6
	v_pack_b32_f16 v2, v3, v2
	ds_write2_b32 v135, v5, v2 offset0:98 offset1:188
	s_waitcnt vmcnt(16)
	v_lshrrev_b32_e32 v2, 16, v9
	v_mul_f16_sdwa v3, v116, v2 dst_sel:DWORD dst_unused:UNUSED_PAD src0_sel:WORD_1 src1_sel:DWORD
	v_mul_f16_sdwa v5, v116, v9 dst_sel:DWORD dst_unused:UNUSED_PAD src0_sel:WORD_1 src1_sel:DWORD
	v_fma_f16 v3, v116, v9, v3
	v_fma_f16 v2, v116, v2, -v5
	v_pack_b32_f16 v2, v3, v2
	ds_write2_b32 v132, v8, v2 offset0:52 offset1:142
	s_waitcnt vmcnt(15)
	v_lshrrev_b32_e32 v2, 16, v11
	s_waitcnt vmcnt(14)
	v_mul_f16_sdwa v3, v119, v2 dst_sel:DWORD dst_unused:UNUSED_PAD src0_sel:WORD_1 src1_sel:DWORD
	v_mul_f16_sdwa v5, v119, v11 dst_sel:DWORD dst_unused:UNUSED_PAD src0_sel:WORD_1 src1_sel:DWORD
	v_fma_f16 v3, v119, v11, v3
	v_fma_f16 v2, v119, v2, -v5
	v_pack_b32_f16 v2, v3, v2
	s_waitcnt vmcnt(13)
	v_lshrrev_b32_e32 v3, 16, v12
	global_load_dword v109, v[53:54], off offset:808
	global_load_dword v104, v[53:54], off offset:1168
	;; [unrolled: 1-line block ×5, first 2 shown]
	v_mov_b32_e32 v11, s13
	s_waitcnt vmcnt(17)
	v_mul_f16_sdwa v5, v117, v3 dst_sel:DWORD dst_unused:UNUSED_PAD src0_sel:WORD_1 src1_sel:DWORD
	v_mul_f16_sdwa v6, v117, v12 dst_sel:DWORD dst_unused:UNUSED_PAD src0_sel:WORD_1 src1_sel:DWORD
	v_fma_f16 v5, v117, v12, v5
	v_fma_f16 v3, v117, v3, -v6
	v_pack_b32_f16 v3, v5, v3
	s_waitcnt vmcnt(16)
	v_lshrrev_b32_e32 v5, 16, v13
	v_mul_f16_sdwa v7, v112, v13 dst_sel:DWORD dst_unused:UNUSED_PAD src0_sel:WORD_1 src1_sel:DWORD
	v_mul_f16_sdwa v6, v112, v5 dst_sel:DWORD dst_unused:UNUSED_PAD src0_sel:WORD_1 src1_sel:DWORD
	v_fma_f16 v5, v112, v5, -v7
	v_mov_b32_e32 v7, s7
	v_addc_co_u32_e32 v1, vcc, v1, v7, vcc
	global_load_dword v7, v[0:1], off
	v_fma_f16 v6, v112, v13, v6
	v_pack_b32_f16 v5, v6, v5
	v_add_co_u32_e32 v0, vcc, s12, v0
	s_waitcnt vmcnt(16)
	v_lshrrev_b32_e32 v6, 16, v10
	s_waitcnt vmcnt(15)
	v_mul_f16_sdwa v8, v114, v6 dst_sel:DWORD dst_unused:UNUSED_PAD src0_sel:WORD_1 src1_sel:DWORD
	v_mul_f16_sdwa v9, v114, v10 dst_sel:DWORD dst_unused:UNUSED_PAD src0_sel:WORD_1 src1_sel:DWORD
	v_fma_f16 v8, v114, v10, v8
	v_fma_f16 v6, v114, v6, -v9
	v_pack_b32_f16 v6, v8, v6
	ds_write2_b32 v128, v2, v6 offset0:146 offset1:236
	s_waitcnt vmcnt(14)
	v_lshrrev_b32_e32 v2, 16, v14
	s_waitcnt vmcnt(13)
	v_mul_f16_sdwa v6, v113, v2 dst_sel:DWORD dst_unused:UNUSED_PAD src0_sel:WORD_1 src1_sel:DWORD
	v_mul_f16_sdwa v8, v113, v14 dst_sel:DWORD dst_unused:UNUSED_PAD src0_sel:WORD_1 src1_sel:DWORD
	v_fma_f16 v6, v113, v14, v6
	v_fma_f16 v2, v113, v2, -v8
	v_pack_b32_f16 v2, v6, v2
	ds_write2_b32 v115, v3, v2 offset0:22 offset1:112
	s_waitcnt vmcnt(12)
	v_lshrrev_b32_e32 v2, 16, v16
	v_mul_f16_sdwa v3, v107, v2 dst_sel:DWORD dst_unused:UNUSED_PAD src0_sel:WORD_1 src1_sel:DWORD
	v_mul_f16_sdwa v6, v107, v16 dst_sel:DWORD dst_unused:UNUSED_PAD src0_sel:WORD_1 src1_sel:DWORD
	v_fma_f16 v3, v107, v16, v3
	v_fma_f16 v2, v107, v2, -v6
	v_pack_b32_f16 v2, v3, v2
	v_mov_b32_e32 v3, s13
	v_addc_co_u32_e32 v1, vcc, v1, v3, vcc
	global_load_dword v3, v[0:1], off
	v_mov_b32_e32 v6, s7
	v_add_co_u32_e32 v0, vcc, s14, v0
	v_addc_co_u32_e32 v1, vcc, v1, v6, vcc
	global_load_dword v6, v[0:1], off
	ds_write2_b32 v118, v5, v2 offset0:104 offset1:194
	v_mov_b32_e32 v5, s7
	v_add_co_u32_e32 v0, vcc, s14, v0
	v_addc_co_u32_e32 v1, vcc, v1, v5, vcc
	global_load_dword v5, v[0:1], off
	v_mov_b32_e32 v9, s13
	v_add_co_u32_e32 v0, vcc, s12, v0
	s_waitcnt vmcnt(9)
	v_lshrrev_b32_e32 v2, 16, v4
	v_addc_co_u32_e32 v1, vcc, v1, v9, vcc
	v_mul_f16_sdwa v8, v110, v2 dst_sel:DWORD dst_unused:UNUSED_PAD src0_sel:WORD_1 src1_sel:DWORD
	global_load_dword v9, v[0:1], off
	v_fma_f16 v8, v110, v4, v8
	v_mul_f16_sdwa v4, v110, v4 dst_sel:DWORD dst_unused:UNUSED_PAD src0_sel:WORD_1 src1_sel:DWORD
	v_fma_f16 v2, v110, v2, -v4
	v_mov_b32_e32 v4, s7
	v_add_co_u32_e32 v0, vcc, s14, v0
	v_addc_co_u32_e32 v1, vcc, v1, v4, vcc
	global_load_dword v4, v[0:1], off
	v_mov_b32_e32 v10, s7
	v_add_co_u32_e32 v0, vcc, s14, v0
	v_addc_co_u32_e32 v1, vcc, v1, v10, vcc
	global_load_dword v10, v[0:1], off
	v_add_co_u32_e32 v0, vcc, s12, v0
	v_addc_co_u32_e32 v1, vcc, v1, v11, vcc
	global_load_dword v11, v[0:1], off
	v_mov_b32_e32 v12, s7
	v_add_co_u32_e32 v0, vcc, s14, v0
	v_addc_co_u32_e32 v1, vcc, v1, v12, vcc
	global_load_dword v12, v[0:1], off
	v_mov_b32_e32 v13, s7
	v_add_co_u32_e32 v0, vcc, s14, v0
	v_addc_co_u32_e32 v1, vcc, v1, v13, vcc
	global_load_dword v13, v[0:1], off
	v_add_co_u32_e32 v0, vcc, s12, v0
	v_pack_b32_f16 v2, v8, v2
	s_waitcnt vmcnt(9)
	v_lshrrev_b32_e32 v8, 16, v7
	v_addc_co_u32_e32 v1, vcc, v1, v15, vcc
	v_mul_f16_sdwa v14, v109, v8 dst_sel:DWORD dst_unused:UNUSED_PAD src0_sel:WORD_1 src1_sel:DWORD
	global_load_dword v15, v[0:1], off
	v_fma_f16 v14, v109, v7, v14
	v_mul_f16_sdwa v7, v109, v7 dst_sel:DWORD dst_unused:UNUSED_PAD src0_sel:WORD_1 src1_sel:DWORD
	v_fma_f16 v7, v109, v8, -v7
	v_mov_b32_e32 v8, s7
	v_add_co_u32_e32 v0, vcc, s14, v0
	v_addc_co_u32_e32 v1, vcc, v1, v8, vcc
	global_load_dword v8, v[0:1], off
	v_pack_b32_f16 v7, v14, v7
	v_mov_b32_e32 v14, s7
	v_add_co_u32_e32 v0, vcc, s14, v0
	v_addc_co_u32_e32 v1, vcc, v1, v14, vcc
	global_load_dword v0, v[0:1], off
	s_mov_b32 s14, 0xb8b4
	s_waitcnt vmcnt(11)
	v_lshrrev_b32_e32 v1, 16, v3
	v_mul_f16_sdwa v14, v103, v1 dst_sel:DWORD dst_unused:UNUSED_PAD src0_sel:WORD_1 src1_sel:DWORD
	v_fma_f16 v14, v103, v3, v14
	v_mul_f16_sdwa v3, v103, v3 dst_sel:DWORD dst_unused:UNUSED_PAD src0_sel:WORD_1 src1_sel:DWORD
	v_fma_f16 v1, v103, v1, -v3
	v_pack_b32_f16 v1, v14, v1
	s_waitcnt vmcnt(10)
	v_lshrrev_b32_e32 v3, 16, v6
	v_mul_f16_sdwa v14, v105, v3 dst_sel:DWORD dst_unused:UNUSED_PAD src0_sel:WORD_1 src1_sel:DWORD
	v_fma_f16 v14, v105, v6, v14
	v_mul_f16_sdwa v6, v105, v6 dst_sel:DWORD dst_unused:UNUSED_PAD src0_sel:WORD_1 src1_sel:DWORD
	v_fma_f16 v3, v105, v3, -v6
	v_pack_b32_f16 v3, v14, v3
	ds_write2_b32 v108, v2, v3 offset0:70 offset1:160
	s_waitcnt vmcnt(9)
	v_lshrrev_b32_e32 v2, 16, v5
	v_mul_f16_sdwa v3, v104, v2 dst_sel:DWORD dst_unused:UNUSED_PAD src0_sel:WORD_1 src1_sel:DWORD
	v_fma_f16 v3, v104, v5, v3
	v_mul_f16_sdwa v5, v104, v5 dst_sel:DWORD dst_unused:UNUSED_PAD src0_sel:WORD_1 src1_sel:DWORD
	v_fma_f16 v2, v104, v2, -v5
	v_pack_b32_f16 v2, v3, v2
	ds_write2_b32 v138, v7, v2 offset0:74 offset1:164
	s_waitcnt vmcnt(8)
	v_lshrrev_b32_e32 v2, 16, v9
	v_mul_f16_sdwa v3, v97, v2 dst_sel:DWORD dst_unused:UNUSED_PAD src0_sel:WORD_1 src1_sel:DWORD
	v_mul_f16_sdwa v5, v97, v9 dst_sel:DWORD dst_unused:UNUSED_PAD src0_sel:WORD_1 src1_sel:DWORD
	v_fma_f16 v3, v97, v9, v3
	v_fma_f16 v2, v97, v2, -v5
	v_pack_b32_f16 v2, v3, v2
	ds_write2_b32 v111, v1, v2 offset0:28 offset1:118
	s_waitcnt vmcnt(7)
	v_lshrrev_b32_e32 v1, 16, v4
	v_mul_f16_sdwa v2, v99, v1 dst_sel:DWORD dst_unused:UNUSED_PAD src0_sel:WORD_1 src1_sel:DWORD
	v_mul_f16_sdwa v3, v99, v4 dst_sel:DWORD dst_unused:UNUSED_PAD src0_sel:WORD_1 src1_sel:DWORD
	v_fma_f16 v2, v99, v4, v2
	v_fma_f16 v1, v99, v1, -v3
	v_pack_b32_f16 v1, v2, v1
	s_waitcnt vmcnt(6)
	v_lshrrev_b32_e32 v2, 16, v10
	v_mul_f16_sdwa v3, v98, v2 dst_sel:DWORD dst_unused:UNUSED_PAD src0_sel:WORD_1 src1_sel:DWORD
	v_mul_f16_sdwa v4, v98, v10 dst_sel:DWORD dst_unused:UNUSED_PAD src0_sel:WORD_1 src1_sel:DWORD
	v_fma_f16 v3, v98, v10, v3
	v_fma_f16 v2, v98, v2, -v4
	v_pack_b32_f16 v2, v3, v2
	;; [unrolled: 7-line block ×4, first 2 shown]
	ds_write2_b32 v139, v1, v4 offset0:122 offset1:212
	s_waitcnt vmcnt(3)
	v_lshrrev_b32_e32 v1, 16, v13
	v_mul_f16_sdwa v4, v94, v1 dst_sel:DWORD dst_unused:UNUSED_PAD src0_sel:WORD_1 src1_sel:DWORD
	v_mul_f16_sdwa v5, v94, v13 dst_sel:DWORD dst_unused:UNUSED_PAD src0_sel:WORD_1 src1_sel:DWORD
	v_fma_f16 v4, v94, v13, v4
	v_fma_f16 v1, v94, v1, -v5
	v_pack_b32_f16 v1, v4, v1
	ds_write2_b32 v106, v2, v1 offset0:126 offset1:216
	s_waitcnt vmcnt(2)
	v_lshrrev_b32_e32 v1, 16, v15
	v_mul_f16_sdwa v2, v92, v1 dst_sel:DWORD dst_unused:UNUSED_PAD src0_sel:WORD_1 src1_sel:DWORD
	v_mul_f16_sdwa v4, v92, v15 dst_sel:DWORD dst_unused:UNUSED_PAD src0_sel:WORD_1 src1_sel:DWORD
	v_fma_f16 v2, v92, v15, v2
	v_fma_f16 v1, v92, v1, -v4
	v_pack_b32_f16 v1, v2, v1
	;; [unrolled: 8-line block ×3, first 2 shown]
	ds_write_b32 v134, v1 offset:6840
	s_waitcnt vmcnt(0)
	v_lshrrev_b32_e32 v1, 16, v0
	v_mul_f16_sdwa v2, v91, v1 dst_sel:DWORD dst_unused:UNUSED_PAD src0_sel:WORD_1 src1_sel:DWORD
	v_fma_f16 v2, v91, v0, v2
	v_mul_f16_sdwa v0, v91, v0 dst_sel:DWORD dst_unused:UNUSED_PAD src0_sel:WORD_1 src1_sel:DWORD
	v_fma_f16 v0, v91, v1, -v0
	v_pack_b32_f16 v0, v2, v0
	ds_write_b32 v134, v0 offset:10440
	s_waitcnt lgkmcnt(0)
	s_barrier
	ds_read2_b32 v[0:1], v134 offset1:90
	ds_read2_b32 v[2:3], v132 offset0:52 offset1:142
	ds_read2_b32 v[4:5], v136 offset0:132 offset1:222
	;; [unrolled: 1-line block ×5, first 2 shown]
	s_waitcnt lgkmcnt(5)
	v_lshrrev_b32_e32 v12, 16, v0
	s_waitcnt lgkmcnt(3)
	v_add_f16_e32 v16, v0, v4
	s_waitcnt lgkmcnt(2)
	v_add_f16_e32 v17, v4, v6
	v_fma_f16 v17, v17, -0.5, v0
	v_add_f16_sdwa v0, v12, v4 dst_sel:DWORD dst_unused:UNUSED_PAD src0_sel:DWORD src1_sel:WORD_1
	v_add_f16_sdwa v19, v0, v6 dst_sel:DWORD dst_unused:UNUSED_PAD src0_sel:DWORD src1_sel:WORD_1
	v_add_f16_e32 v0, v1, v5
	v_lshrrev_b32_e32 v13, 16, v1
	v_add_f16_e32 v22, v0, v7
	v_add_f16_e32 v0, v5, v7
	v_fma_f16 v23, v0, -0.5, v1
	v_add_f16_sdwa v0, v13, v5 dst_sel:DWORD dst_unused:UNUSED_PAD src0_sel:DWORD src1_sel:WORD_1
	s_waitcnt lgkmcnt(0)
	v_add_f16_e32 v1, v8, v10
	v_add_f16_sdwa v25, v0, v7 dst_sel:DWORD dst_unused:UNUSED_PAD src0_sel:DWORD src1_sel:WORD_1
	v_add_f16_e32 v0, v2, v8
	v_fma_f16 v28, v1, -0.5, v2
	v_add_f16_e32 v1, v9, v11
	v_lshrrev_b32_e32 v14, 16, v2
	v_lshrrev_b32_e32 v15, 16, v3
	v_sub_f16_sdwa v18, v4, v6 dst_sel:DWORD dst_unused:UNUSED_PAD src0_sel:WORD_1 src1_sel:WORD_1
	v_add_f16_sdwa v20, v4, v6 dst_sel:DWORD dst_unused:UNUSED_PAD src0_sel:WORD_1 src1_sel:WORD_1
	v_sub_f16_e32 v21, v4, v6
	v_sub_f16_sdwa v24, v5, v7 dst_sel:DWORD dst_unused:UNUSED_PAD src0_sel:WORD_1 src1_sel:WORD_1
	v_add_f16_sdwa v26, v5, v7 dst_sel:DWORD dst_unused:UNUSED_PAD src0_sel:WORD_1 src1_sel:WORD_1
	v_sub_f16_e32 v27, v5, v7
	v_fma_f16 v31, v1, -0.5, v3
	v_add_f16_e32 v7, v3, v9
	v_add_f16_e32 v35, v0, v10
	ds_read2_b32 v[0:1], v121 offset0:108 offset1:198
	ds_read2_b32 v[2:3], v115 offset0:112 offset1:202
	;; [unrolled: 1-line block ×3, first 2 shown]
	v_add_f16_e32 v16, v16, v6
	v_add_f16_sdwa v6, v14, v8 dst_sel:DWORD dst_unused:UNUSED_PAD src0_sel:DWORD src1_sel:WORD_1
	v_sub_f16_sdwa v29, v8, v10 dst_sel:DWORD dst_unused:UNUSED_PAD src0_sel:WORD_1 src1_sel:WORD_1
	v_add_f16_sdwa v30, v8, v10 dst_sel:DWORD dst_unused:UNUSED_PAD src0_sel:WORD_1 src1_sel:WORD_1
	v_sub_f16_e32 v8, v8, v10
	v_add_f16_sdwa v33, v15, v9 dst_sel:DWORD dst_unused:UNUSED_PAD src0_sel:DWORD src1_sel:WORD_1
	v_add_f16_sdwa v10, v6, v10 dst_sel:DWORD dst_unused:UNUSED_PAD src0_sel:DWORD src1_sel:WORD_1
	s_waitcnt lgkmcnt(1)
	v_add_f16_e32 v6, v0, v2
	v_sub_f16_sdwa v32, v9, v11 dst_sel:DWORD dst_unused:UNUSED_PAD src0_sel:WORD_1 src1_sel:WORD_1
	v_add_f16_sdwa v34, v9, v11 dst_sel:DWORD dst_unused:UNUSED_PAD src0_sel:WORD_1 src1_sel:WORD_1
	v_sub_f16_e32 v9, v9, v11
	v_add_f16_e32 v36, v7, v11
	v_add_f16_sdwa v11, v33, v11 dst_sel:DWORD dst_unused:UNUSED_PAD src0_sel:DWORD src1_sel:WORD_1
	s_waitcnt lgkmcnt(0)
	v_fma_f16 v33, v6, -0.5, v4
	v_add_f16_e32 v6, v1, v3
	v_lshrrev_b32_e32 v38, 16, v4
	v_lshrrev_b32_e32 v39, 16, v5
	v_add_f16_e32 v4, v4, v0
	v_fma_f16 v37, v6, -0.5, v5
	v_add_f16_e32 v40, v5, v1
	v_sub_f16_sdwa v41, v0, v2 dst_sel:DWORD dst_unused:UNUSED_PAD src0_sel:WORD_1 src1_sel:WORD_1
	v_add_f16_sdwa v42, v38, v0 dst_sel:DWORD dst_unused:UNUSED_PAD src0_sel:DWORD src1_sel:WORD_1
	v_add_f16_sdwa v43, v0, v2 dst_sel:DWORD dst_unused:UNUSED_PAD src0_sel:WORD_1 src1_sel:WORD_1
	v_sub_f16_e32 v44, v0, v2
	v_sub_f16_sdwa v45, v1, v3 dst_sel:DWORD dst_unused:UNUSED_PAD src0_sel:WORD_1 src1_sel:WORD_1
	v_add_f16_sdwa v46, v39, v1 dst_sel:DWORD dst_unused:UNUSED_PAD src0_sel:DWORD src1_sel:WORD_1
	v_add_f16_sdwa v47, v1, v3 dst_sel:DWORD dst_unused:UNUSED_PAD src0_sel:WORD_1 src1_sel:WORD_1
	v_sub_f16_e32 v49, v1, v3
	v_add_f16_e32 v50, v4, v2
	ds_read2_b32 v[0:1], v108 offset0:160 offset1:250
	ds_read2_b32 v[4:5], v106 offset0:36 offset1:126
	;; [unrolled: 1-line block ×3, first 2 shown]
	v_add_f16_sdwa v42, v42, v2 dst_sel:DWORD dst_unused:UNUSED_PAD src0_sel:DWORD src1_sel:WORD_1
	v_add_f16_e32 v40, v40, v3
	v_add_f16_sdwa v46, v46, v3 dst_sel:DWORD dst_unused:UNUSED_PAD src0_sel:DWORD src1_sel:WORD_1
	s_waitcnt lgkmcnt(1)
	v_add_f16_e32 v2, v0, v4
	s_waitcnt lgkmcnt(0)
	v_fma_f16 v51, v2, -0.5, v6
	v_add_f16_e32 v2, v1, v5
	v_fma_f16 v52, v2, -0.5, v7
	v_lshrrev_b32_e32 v55, 16, v6
	v_lshrrev_b32_e32 v56, 16, v7
	v_add_f16_e32 v2, v6, v0
	v_add_f16_e32 v57, v7, v1
	v_sub_f16_sdwa v58, v0, v4 dst_sel:DWORD dst_unused:UNUSED_PAD src0_sel:WORD_1 src1_sel:WORD_1
	v_add_f16_sdwa v59, v55, v0 dst_sel:DWORD dst_unused:UNUSED_PAD src0_sel:DWORD src1_sel:WORD_1
	v_add_f16_sdwa v60, v0, v4 dst_sel:DWORD dst_unused:UNUSED_PAD src0_sel:WORD_1 src1_sel:WORD_1
	v_sub_f16_e32 v61, v0, v4
	v_sub_f16_sdwa v62, v1, v5 dst_sel:DWORD dst_unused:UNUSED_PAD src0_sel:WORD_1 src1_sel:WORD_1
	v_add_f16_sdwa v63, v56, v1 dst_sel:DWORD dst_unused:UNUSED_PAD src0_sel:DWORD src1_sel:WORD_1
	v_add_f16_sdwa v64, v1, v5 dst_sel:DWORD dst_unused:UNUSED_PAD src0_sel:WORD_1 src1_sel:WORD_1
	v_sub_f16_e32 v65, v1, v5
	v_add_f16_e32 v66, v2, v4
	ds_read2_b32 v[0:1], v102 offset0:84 offset1:174
	ds_read2_b32 v[2:3], v101 offset0:88 offset1:178
	;; [unrolled: 1-line block ×3, first 2 shown]
	v_add_f16_sdwa v4, v59, v4 dst_sel:DWORD dst_unused:UNUSED_PAD src0_sel:DWORD src1_sel:WORD_1
	v_fma_f16 v12, v20, -0.5, v12
	v_fma_f16 v20, v18, s0, v17
	s_waitcnt lgkmcnt(1)
	v_add_f16_e32 v59, v0, v2
	s_waitcnt lgkmcnt(0)
	v_lshrrev_b32_e32 v67, 16, v6
	v_fma_f16 v59, v59, -0.5, v6
	v_add_f16_e32 v6, v6, v0
	v_add_f16_sdwa v68, v67, v0 dst_sel:DWORD dst_unused:UNUSED_PAD src0_sel:DWORD src1_sel:WORD_1
	v_sub_f16_sdwa v72, v0, v2 dst_sel:DWORD dst_unused:UNUSED_PAD src0_sel:WORD_1 src1_sel:WORD_1
	v_add_f16_sdwa v73, v0, v2 dst_sel:DWORD dst_unused:UNUSED_PAD src0_sel:WORD_1 src1_sel:WORD_1
	v_sub_f16_e32 v0, v0, v2
	v_add_f16_e32 v6, v6, v2
	v_add_f16_sdwa v2, v68, v2 dst_sel:DWORD dst_unused:UNUSED_PAD src0_sel:DWORD src1_sel:WORD_1
	v_fma_f16 v68, v21, s1, v12
	v_pack_b32_f16 v16, v16, v19
	v_mul_lo_u16_e32 v19, 3, v130
	v_add_f16_e32 v57, v57, v5
	v_add_f16_sdwa v5, v63, v5 dst_sel:DWORD dst_unused:UNUSED_PAD src0_sel:DWORD src1_sel:WORD_1
	v_add_f16_e32 v63, v1, v3
	v_lshrrev_b32_e32 v71, 16, v7
	v_pack_b32_f16 v20, v20, v68
	v_lshlrev_b32_e32 v144, 2, v19
	v_fma_f16 v63, v63, -0.5, v7
	v_add_f16_e32 v7, v7, v1
	v_add_f16_sdwa v69, v71, v1 dst_sel:DWORD dst_unused:UNUSED_PAD src0_sel:DWORD src1_sel:WORD_1
	s_barrier
	ds_write2_b32 v144, v16, v20 offset1:1
	v_fma_f16 v16, v18, s1, v17
	v_fma_f16 v12, v21, s0, v12
	v_sub_f16_sdwa v74, v1, v3 dst_sel:DWORD dst_unused:UNUSED_PAD src0_sel:WORD_1 src1_sel:WORD_1
	v_add_f16_sdwa v75, v1, v3 dst_sel:DWORD dst_unused:UNUSED_PAD src0_sel:WORD_1 src1_sel:WORD_1
	v_sub_f16_e32 v1, v1, v3
	v_add_f16_e32 v7, v7, v3
	v_add_f16_sdwa v3, v69, v3 dst_sel:DWORD dst_unused:UNUSED_PAD src0_sel:DWORD src1_sel:WORD_1
	v_fma_f16 v13, v26, -0.5, v13
	v_pack_b32_f16 v12, v16, v12
	v_add_co_u32_e32 v69, vcc, s6, v130
	ds_write_b32 v144, v12 offset:8
	v_fma_f16 v12, v24, s0, v23
	v_fma_f16 v16, v27, s1, v13
	v_mul_u32_u24_e32 v17, 3, v69
	v_pack_b32_f16 v12, v12, v16
	v_pack_b32_f16 v16, v22, v25
	v_lshlrev_b32_e32 v145, 2, v17
	ds_write2_b32 v145, v16, v12 offset1:1
	v_fma_f16 v12, v24, s1, v23
	v_fma_f16 v13, v27, s0, v13
	v_fma_f16 v14, v30, -0.5, v14
	v_pack_b32_f16 v12, v12, v13
	s_movk_i32 s6, 0xb4
	ds_write_b32 v145, v12 offset:8
	v_fma_f16 v12, v29, s0, v28
	v_fma_f16 v13, v8, s1, v14
	v_add_co_u32_e32 v68, vcc, s6, v130
	v_pack_b32_f16 v12, v12, v13
	v_mul_u32_u24_e32 v13, 3, v68
	v_pack_b32_f16 v10, v35, v10
	v_lshlrev_b32_e32 v146, 2, v13
	ds_write2_b32 v146, v10, v12 offset1:1
	v_fma_f16 v10, v29, s1, v28
	v_fma_f16 v8, v8, s0, v14
	v_fma_f16 v12, v34, -0.5, v15
	v_pack_b32_f16 v8, v10, v8
	s_movk_i32 s6, 0x10e
	ds_write_b32 v146, v8 offset:8
	v_fma_f16 v8, v32, s0, v31
	v_fma_f16 v10, v9, s1, v12
	v_add_co_u32_e32 v80, vcc, s6, v130
	v_pack_b32_f16 v8, v8, v10
	v_pack_b32_f16 v10, v36, v11
	v_mul_u32_u24_e32 v11, 3, v80
	v_lshlrev_b32_e32 v148, 2, v11
	ds_write2_b32 v148, v10, v8 offset1:1
	v_fma_f16 v8, v32, s1, v31
	v_fma_f16 v9, v9, s0, v12
	v_fma_f16 v10, v43, -0.5, v38
	v_pack_b32_f16 v8, v8, v9
	ds_write_b32 v148, v8 offset:8
	v_fma_f16 v8, v41, s0, v33
	v_fma_f16 v9, v44, s1, v10
	v_mul_u32_u24_e32 v11, 3, v79
	v_pack_b32_f16 v8, v8, v9
	v_pack_b32_f16 v9, v50, v42
	v_lshlrev_b32_e32 v150, 2, v11
	ds_write2_b32 v150, v9, v8 offset1:1
	v_fma_f16 v8, v41, s1, v33
	v_fma_f16 v9, v44, s0, v10
	v_fma_f16 v10, v47, -0.5, v39
	v_pack_b32_f16 v8, v8, v9
	ds_write_b32 v150, v8 offset:8
	v_fma_f16 v8, v45, s0, v37
	v_fma_f16 v9, v49, s1, v10
	v_mul_u32_u24_e32 v11, 3, v81
	v_pack_b32_f16 v8, v8, v9
	v_pack_b32_f16 v9, v40, v46
	v_lshlrev_b32_e32 v151, 2, v11
	v_addc_co_u32_e64 v70, s[6:7], 0, 0, vcc
	ds_write2_b32 v151, v9, v8 offset1:1
	v_fma_f16 v8, v45, s1, v37
	v_fma_f16 v9, v49, s0, v10
	v_fma_f16 v10, v60, -0.5, v55
	v_pack_b32_f16 v8, v8, v9
	s_movk_i32 s6, 0x21c
	ds_write_b32 v151, v8 offset:8
	v_fma_f16 v8, v58, s0, v51
	v_fma_f16 v9, v61, s1, v10
	v_add_co_u32_e32 v83, vcc, s6, v130
	v_pack_b32_f16 v8, v8, v9
	v_mul_u32_u24_e32 v9, 3, v83
	v_pack_b32_f16 v4, v66, v4
	v_lshlrev_b32_e32 v152, 2, v9
	ds_write2_b32 v152, v4, v8 offset1:1
	v_fma_f16 v4, v58, s1, v51
	v_fma_f16 v8, v61, s0, v10
	v_fma_f16 v9, v64, -0.5, v56
	v_pack_b32_f16 v4, v4, v8
	s_movk_i32 s6, 0x276
	ds_write_b32 v152, v4 offset:8
	v_fma_f16 v4, v62, s0, v52
	v_fma_f16 v8, v65, s1, v9
	v_add_co_u32_e32 v85, vcc, s6, v130
	v_pack_b32_f16 v4, v4, v8
	v_mul_u32_u24_e32 v8, 3, v85
	v_pack_b32_f16 v5, v57, v5
	v_lshlrev_b32_e32 v153, 2, v8
	;; [unrolled: 14-line block ×3, first 2 shown]
	s_movk_i32 s6, 0x32a
	ds_write2_b32 v154, v2, v4 offset1:1
	v_fma_f16 v2, v72, s1, v59
	v_fma_f16 v0, v0, s0, v8
	v_fma_f16 v6, v75, -0.5, v71
	v_add_co_u32_e32 v89, vcc, s6, v130
	v_fma_f16 v4, v74, s0, v63
	v_fma_f16 v8, v1, s1, v6
	v_pack_b32_f16 v0, v2, v0
	v_mul_u32_u24_e32 v2, 3, v89
	v_fma_f16 v5, v74, s1, v63
	v_fma_f16 v1, v1, s0, v6
	ds_write_b32 v154, v0 offset:8
	v_pack_b32_f16 v0, v4, v8
	v_lshlrev_b32_e32 v156, 2, v2
	v_pack_b32_f16 v2, v7, v3
	ds_write2_b32 v156, v2, v0 offset1:1
	v_pack_b32_f16 v0, v5, v1
	s_movk_i32 s6, 0xab
	ds_write_b32 v156, v0 offset:8
	v_mul_lo_u16_sdwa v0, v130, s6 dst_sel:DWORD dst_unused:UNUSED_PAD src0_sel:BYTE_0 src1_sel:DWORD
	v_lshrrev_b16_e32 v26, 9, v0
	v_mul_lo_u16_e32 v0, 3, v26
	v_sub_u16_e32 v0, v130, v0
	v_and_b32_e32 v27, 0xff, v0
	v_mad_u64_u32 v[8:9], s[12:13], v27, 36, s[2:3]
	s_waitcnt lgkmcnt(0)
	s_barrier
	global_load_dwordx4 v[4:7], v[8:9], off
	global_load_dwordx4 v[0:3], v[8:9], off offset:16
	global_load_dword v142, v[8:9], off offset:32
	ds_read2_b32 v[9:10], v111 offset0:28 offset1:118
	ds_read2_b32 v[12:13], v128 offset0:56 offset1:146
	;; [unrolled: 1-line block ×4, first 2 shown]
	ds_read2_b32 v[59:60], v134 offset1:90
	s_waitcnt lgkmcnt(4)
	v_lshrrev_b32_e32 v8, 16, v9
	ds_read2_b32 v[36:37], v132 offset0:52 offset1:142
	v_mul_u32_u24_e32 v26, 30, v26
	v_add_lshl_u32 v147, v26, v27, 2
	s_waitcnt lgkmcnt(1)
	v_lshrrev_b32_e32 v157, 16, v59
	s_movk_i32 s12, 0x3b9c
	s_mov_b32 s13, 0xbb9c
	v_mov_b32_e32 v73, s3
	v_lshlrev_b32_e32 v79, 3, v79
	v_lshlrev_b32_e32 v81, 3, v81
	s_waitcnt vmcnt(2)
	v_mul_f16_sdwa v11, v9, v5 dst_sel:DWORD dst_unused:UNUSED_PAD src0_sel:DWORD src1_sel:WORD_1
	v_fma_f16 v38, v8, v5, v11
	v_mul_f16_sdwa v8, v8, v5 dst_sel:DWORD dst_unused:UNUSED_PAD src0_sel:DWORD src1_sel:WORD_1
	v_fma_f16 v39, v9, v5, -v8
	v_lshrrev_b32_e32 v8, 16, v12
	v_mul_f16_sdwa v9, v12, v7 dst_sel:DWORD dst_unused:UNUSED_PAD src0_sel:DWORD src1_sel:WORD_1
	v_fma_f16 v40, v8, v7, v9
	v_mul_f16_sdwa v8, v8, v7 dst_sel:DWORD dst_unused:UNUSED_PAD src0_sel:DWORD src1_sel:WORD_1
	v_fma_f16 v41, v12, v7, -v8
	v_lshrrev_b32_e32 v8, 16, v19
	s_waitcnt vmcnt(1)
	v_mul_f16_sdwa v9, v19, v1 dst_sel:DWORD dst_unused:UNUSED_PAD src0_sel:DWORD src1_sel:WORD_1
	v_fma_f16 v42, v8, v1, v9
	v_mul_f16_sdwa v8, v8, v1 dst_sel:DWORD dst_unused:UNUSED_PAD src0_sel:DWORD src1_sel:WORD_1
	v_fma_f16 v44, v19, v1, -v8
	v_lshrrev_b32_e32 v8, 16, v22
	v_mul_f16_sdwa v9, v22, v3 dst_sel:DWORD dst_unused:UNUSED_PAD src0_sel:DWORD src1_sel:WORD_1
	v_fma_f16 v43, v8, v3, v9
	v_mul_f16_sdwa v8, v8, v3 dst_sel:DWORD dst_unused:UNUSED_PAD src0_sel:DWORD src1_sel:WORD_1
	v_fma_f16 v45, v22, v3, -v8
	ds_read2_b32 v[8:9], v100 offset0:80 offset1:170
	v_sub_f16_e32 v11, v39, v41
	v_sub_f16_e32 v12, v45, v44
	v_add_f16_e32 v46, v11, v12
	v_sub_f16_e32 v11, v38, v40
	v_sub_f16_e32 v12, v43, v42
	v_add_f16_e32 v47, v11, v12
	s_waitcnt lgkmcnt(0)
	v_lshrrev_b32_e32 v14, 16, v9
	ds_read2_b32 v[11:12], v121 offset0:108 offset1:198
	v_mul_f16_sdwa v15, v9, v6 dst_sel:DWORD dst_unused:UNUSED_PAD src0_sel:DWORD src1_sel:WORD_1
	v_fma_f16 v49, v14, v6, v15
	v_mul_f16_sdwa v14, v14, v6 dst_sel:DWORD dst_unused:UNUSED_PAD src0_sel:DWORD src1_sel:WORD_1
	v_fma_f16 v50, v9, v6, -v14
	ds_read2_b32 v[14:15], v135 offset0:8 offset1:98
	ds_read2_b32 v[21:22], v106 offset0:36 offset1:126
	s_waitcnt lgkmcnt(2)
	v_lshrrev_b32_e32 v9, 16, v12
	v_mul_f16_sdwa v16, v12, v0 dst_sel:DWORD dst_unused:UNUSED_PAD src0_sel:DWORD src1_sel:WORD_1
	v_fma_f16 v51, v9, v0, v16
	v_mul_f16_sdwa v9, v9, v0 dst_sel:DWORD dst_unused:UNUSED_PAD src0_sel:DWORD src1_sel:WORD_1
	v_fma_f16 v55, v12, v0, -v9
	s_waitcnt lgkmcnt(1)
	v_lshrrev_b32_e32 v16, 16, v15
	v_mul_f16_sdwa v9, v15, v2 dst_sel:DWORD dst_unused:UNUSED_PAD src0_sel:DWORD src1_sel:WORD_1
	v_fma_f16 v52, v16, v2, v9
	v_mul_f16_sdwa v16, v16, v2 dst_sel:DWORD dst_unused:UNUSED_PAD src0_sel:DWORD src1_sel:WORD_1
	v_fma_f16 v56, v15, v2, -v16
	s_waitcnt lgkmcnt(0)
	v_lshrrev_b32_e32 v28, 16, v22
	s_waitcnt vmcnt(0)
	v_mul_f16_sdwa v15, v22, v142 dst_sel:DWORD dst_unused:UNUSED_PAD src0_sel:DWORD src1_sel:WORD_1
	v_fma_f16 v15, v28, v142, v15
	v_mul_f16_sdwa v28, v28, v142 dst_sel:DWORD dst_unused:UNUSED_PAD src0_sel:DWORD src1_sel:WORD_1
	v_fma_f16 v22, v22, v142, -v28
	v_add_f16_e32 v26, v59, v39
	v_sub_f16_e32 v28, v50, v55
	v_sub_f16_e32 v29, v22, v56
	v_add_f16_e32 v26, v26, v41
	v_add_f16_e32 v57, v28, v29
	v_sub_f16_e32 v28, v49, v51
	v_sub_f16_e32 v29, v15, v52
	v_add_f16_e32 v26, v26, v44
	v_add_f16_e32 v58, v28, v29
	v_lshrrev_b32_e32 v28, 16, v37
	v_mul_f16_sdwa v29, v37, v4 dst_sel:DWORD dst_unused:UNUSED_PAD src0_sel:DWORD src1_sel:WORD_1
	v_add_f16_e32 v149, v26, v45
	v_add_f16_e32 v26, v157, v38
	v_fma_f16 v67, v28, v4, v29
	v_mul_f16_sdwa v28, v28, v4 dst_sel:DWORD dst_unused:UNUSED_PAD src0_sel:DWORD src1_sel:WORD_1
	v_add_f16_e32 v26, v26, v40
	v_fma_f16 v37, v37, v4, -v28
	v_add_f16_e32 v26, v26, v42
	v_add_f16_e32 v158, v26, v43
	;; [unrolled: 1-line block ×7, first 2 shown]
	v_mul_lo_u16_sdwa v9, v69, s6 dst_sel:DWORD dst_unused:UNUSED_PAD src0_sel:BYTE_0 src1_sel:DWORD
	v_add_f16_e32 v26, v26, v51
	v_lshrrev_b16_e32 v9, 9, v9
	v_add_f16_e32 v26, v26, v52
	v_mul_lo_u16_e32 v12, 3, v9
	v_add_f16_e32 v160, v26, v15
	v_sub_u16_e32 v12, v69, v12
	v_add_f16_e32 v26, v149, v159
	v_add_f16_e32 v27, v158, v160
	v_and_b32_e32 v12, 0xff, v12
	v_pack_b32_f16 v161, v26, v27
	v_add_f16_e32 v26, v41, v44
	v_mad_u64_u32 v[24:25], s[6:7], v12, 36, s[2:3]
	v_add_f16_e32 v29, v51, v52
	v_fma_f16 v162, v26, -0.5, v59
	v_sub_f16_e32 v163, v38, v43
	s_movk_i32 s6, 0x38b4
	v_add_f16_e32 v28, v55, v56
	v_fma_f16 v82, v29, -0.5, v67
	v_sub_f16_e32 v84, v50, v22
	v_fma_f16 v26, v163, s12, v162
	v_sub_f16_e32 v164, v40, v42
	s_movk_i32 s7, 0x34f2
	v_fma_f16 v76, v28, -0.5, v37
	v_sub_f16_e32 v77, v49, v15
	v_fma_f16 v29, v84, s13, v82
	v_sub_f16_e32 v86, v55, v56
	v_fma_f16 v26, v164, s6, v26
	v_fma_f16 v28, v77, s12, v76
	v_sub_f16_e32 v78, v51, v52
	v_fma_f16 v29, v86, s14, v29
	v_fma_f16 v165, v46, s7, v26
	v_add_f16_e32 v26, v40, v42
	v_fma_f16 v28, v78, s6, v28
	v_fma_f16 v29, v58, s7, v29
	v_fma_f16 v166, v26, -0.5, v157
	v_sub_f16_e32 v167, v39, v45
	v_fma_f16 v28, v57, s7, v28
	v_mul_f16_e32 v30, 0x38b4, v29
	v_fma_f16 v26, v167, s13, v166
	v_sub_f16_e32 v168, v41, v44
	v_fma_f16 v88, v28, s15, v30
	v_mul_f16_e32 v28, 0xb8b4, v28
	v_fma_f16 v26, v168, s14, v26
	v_fma_f16 v90, v29, s15, v28
	;; [unrolled: 1-line block ×3, first 2 shown]
	v_add_f16_e32 v26, v165, v88
	v_add_f16_e32 v27, v169, v90
	v_pack_b32_f16 v170, v26, v27
	v_mul_u32_u24_sdwa v26, v68, s16 dst_sel:DWORD dst_unused:UNUSED_PAD src0_sel:WORD_0 src1_sel:DWORD
	global_load_dwordx4 v[16:19], v[24:25], off
	v_lshrrev_b32_e32 v171, 17, v26
	v_mul_lo_u16_e32 v26, 3, v171
	v_sub_u16_e32 v172, v68, v26
	v_mul_lo_u16_e32 v26, 36, v172
	v_add_co_u32_e32 v26, vcc, s2, v26
	v_addc_co_u32_e32 v27, vcc, 0, v73, vcc
	global_load_dword v143, v[26:27], off offset:32
	global_load_dword v155, v[24:25], off offset:32
	global_load_dwordx4 v[28:31], v[24:25], off offset:16
	v_sub_f16_e32 v41, v41, v39
	v_add_f16_e32 v39, v39, v45
	v_sub_f16_e32 v44, v44, v45
	v_fma_f16 v39, v39, -0.5, v59
	v_add_f16_e32 v41, v41, v44
	v_fma_f16 v44, v164, s13, v39
	v_fma_f16 v39, v164, s12, v39
	v_fma_f16 v44, v163, s6, v44
	v_fma_f16 v39, v163, s14, v39
	v_fma_f16 v44, v41, s7, v44
	v_fma_f16 v39, v41, s7, v39
	v_add_f16_e32 v41, v38, v43
	v_fma_f16 v41, v41, -0.5, v157
	v_sub_f16_e32 v38, v40, v38
	v_sub_f16_e32 v40, v42, v43
	v_add_f16_e32 v38, v38, v40
	v_fma_f16 v40, v168, s12, v41
	v_fma_f16 v41, v168, s13, v41
	v_fma_f16 v40, v167, s14, v40
	v_fma_f16 v41, v167, s6, v41
	v_fma_f16 v40, v38, s7, v40
	v_fma_f16 v38, v38, s7, v41
	v_add_f16_e32 v41, v50, v22
	v_fma_f16 v37, v41, -0.5, v37
	v_sub_f16_e32 v41, v55, v50
	v_sub_f16_e32 v22, v56, v22
	;; [unrolled: 11-line block ×3, first 2 shown]
	v_add_f16_e32 v15, v42, v15
	v_fma_f16 v42, v86, s12, v37
	v_fma_f16 v42, v84, s14, v42
	;; [unrolled: 1-line block ×6, first 2 shown]
	v_mul_f16_e32 v37, 0x3b9c, v42
	v_fma_f16 v37, v41, s7, v37
	v_mul_f16_e32 v41, 0xbb9c, v41
	v_fma_f16 v41, v42, s7, v41
	v_mul_f16_e32 v42, 0xb4f2, v22
	v_fma_f16 v42, v15, s12, v42
	v_mul_f16_e32 v15, 0xb4f2, v15
	v_fma_f16 v15, v22, s13, v15
	v_add_f16_e32 v22, v44, v37
	v_add_f16_e32 v43, v40, v41
	v_pack_b32_f16 v22, v22, v43
	v_add_f16_e32 v43, v39, v42
	v_add_f16_e32 v45, v38, v15
	v_pack_b32_f16 v43, v43, v45
	ds_read2_b32 v[61:62], v118 offset0:104 offset1:194
	ds_read2_b32 v[63:64], v136 offset0:132 offset1:222
	;; [unrolled: 1-line block ×5, first 2 shown]
	global_load_dwordx4 v[32:35], v[26:27], off
	s_nop 0
	global_load_dwordx4 v[24:27], v[26:27], off offset:16
	s_waitcnt vmcnt(0) lgkmcnt(0)
	s_barrier
	ds_write2_b32 v147, v22, v43 offset0:6 offset1:9
	v_fma_f16 v22, v163, s13, v162
	v_fma_f16 v22, v164, s14, v22
	;; [unrolled: 1-line block ×12, first 2 shown]
	v_mul_f16_e32 v47, 0xba79, v45
	v_fma_f16 v47, v46, s6, v47
	v_mul_f16_e32 v46, 0xba79, v46
	v_fma_f16 v45, v45, s14, v46
	v_sub_f16_e32 v46, v149, v159
	v_sub_f16_e32 v49, v158, v160
	v_add_f16_e32 v50, v22, v47
	v_add_f16_e32 v51, v43, v45
	v_pack_b32_f16 v50, v50, v51
	v_pack_b32_f16 v46, v46, v49
	ds_write2_b32 v147, v50, v46 offset0:12 offset1:15
	v_sub_f16_e32 v46, v165, v88
	v_sub_f16_e32 v37, v44, v37
	;; [unrolled: 1-line block ×4, first 2 shown]
	v_pack_b32_f16 v41, v46, v44
	v_pack_b32_f16 v37, v37, v40
	ds_write2_b32 v147, v41, v37 offset0:18 offset1:21
	v_sub_f16_e32 v37, v39, v42
	v_sub_f16_e32 v22, v22, v47
	;; [unrolled: 1-line block ×4, first 2 shown]
	v_pack_b32_f16 v15, v37, v15
	v_pack_b32_f16 v22, v22, v38
	ds_write2_b32 v147, v15, v22 offset0:24 offset1:27
	v_lshrrev_b32_e32 v15, 16, v10
	v_mul_f16_sdwa v22, v15, v17 dst_sel:DWORD dst_unused:UNUSED_PAD src0_sel:DWORD src1_sel:WORD_1
	v_fma_f16 v22, v10, v17, -v22
	v_mul_f16_sdwa v10, v10, v17 dst_sel:DWORD dst_unused:UNUSED_PAD src0_sel:DWORD src1_sel:WORD_1
	v_fma_f16 v10, v15, v17, v10
	v_lshrrev_b32_e32 v15, 16, v13
	v_mul_f16_sdwa v37, v15, v19 dst_sel:DWORD dst_unused:UNUSED_PAD src0_sel:DWORD src1_sel:WORD_1
	v_fma_f16 v37, v13, v19, -v37
	v_mul_f16_sdwa v13, v13, v19 dst_sel:DWORD dst_unused:UNUSED_PAD src0_sel:DWORD src1_sel:WORD_1
	v_fma_f16 v13, v15, v19, v13
	;; [unrolled: 5-line block ×4, first 2 shown]
	v_sub_f16_e32 v43, v22, v37
	v_sub_f16_e32 v44, v39, v38
	v_add_f16_e32 v43, v43, v44
	v_sub_f16_e32 v44, v10, v13
	v_sub_f16_e32 v45, v20, v15
	v_add_f16_e32 v44, v44, v45
	v_lshrrev_b32_e32 v45, 16, v63
	v_mul_f16_sdwa v46, v63, v18 dst_sel:DWORD dst_unused:UNUSED_PAD src0_sel:DWORD src1_sel:WORD_1
	v_lshrrev_b32_e32 v47, 16, v65
	v_mul_f16_sdwa v49, v65, v28 dst_sel:DWORD dst_unused:UNUSED_PAD src0_sel:DWORD src1_sel:WORD_1
	;; [unrolled: 2-line block ×4, first 2 shown]
	v_fma_f16 v46, v45, v18, v46
	v_mul_f16_sdwa v45, v45, v18 dst_sel:DWORD dst_unused:UNUSED_PAD src0_sel:DWORD src1_sel:WORD_1
	v_fma_f16 v49, v47, v28, v49
	v_mul_f16_sdwa v47, v47, v28 dst_sel:DWORD dst_unused:UNUSED_PAD src0_sel:DWORD src1_sel:WORD_1
	;; [unrolled: 2-line block ×4, first 2 shown]
	v_fma_f16 v45, v63, v18, -v45
	v_fma_f16 v47, v65, v28, -v47
	;; [unrolled: 1-line block ×4, first 2 shown]
	v_sub_f16_e32 v56, v45, v47
	v_sub_f16_e32 v57, v52, v50
	v_add_f16_e32 v56, v56, v57
	v_sub_f16_e32 v57, v46, v49
	v_sub_f16_e32 v58, v55, v51
	v_add_f16_e32 v57, v57, v58
	v_lshrrev_b32_e32 v58, 16, v61
	v_mul_f16_sdwa v59, v61, v16 dst_sel:DWORD dst_unused:UNUSED_PAD src0_sel:DWORD src1_sel:WORD_1
	v_add_f16_e32 v23, v37, v38
	v_add_f16_e32 v40, v22, v39
	v_fma_f16 v59, v58, v16, v59
	v_mul_f16_sdwa v58, v58, v16 dst_sel:DWORD dst_unused:UNUSED_PAD src0_sel:DWORD src1_sel:WORD_1
	v_add_f16_e32 v67, v49, v51
	v_fma_f16 v23, v23, -0.5, v60
	v_fma_f16 v40, v40, -0.5, v60
	v_lshrrev_b32_e32 v41, 16, v60
	v_add_f16_e32 v42, v60, v22
	v_fma_f16 v58, v61, v16, -v58
	v_add_f16_e32 v60, v47, v50
	v_fma_f16 v67, v67, -0.5, v59
	v_sub_f16_e32 v71, v45, v52
	v_fma_f16 v60, v60, -0.5, v58
	v_sub_f16_e32 v61, v46, v55
	v_fma_f16 v74, v71, s13, v67
	v_sub_f16_e32 v76, v47, v50
	v_fma_f16 v63, v61, s12, v60
	;; [unrolled: 2-line block ×3, first 2 shown]
	v_fma_f16 v63, v65, s6, v63
	v_fma_f16 v74, v57, s7, v74
	;; [unrolled: 1-line block ×3, first 2 shown]
	v_mul_f16_e32 v77, 0x38b4, v74
	v_fma_f16 v77, v63, s15, v77
	v_mul_f16_e32 v63, 0xb8b4, v63
	v_mul_u32_u24_e32 v9, 30, v9
	v_fma_f16 v63, v74, s15, v63
	v_add_lshl_u32 v158, v9, v12, 2
	v_add_f16_e32 v9, v42, v37
	v_add_f16_e32 v12, v41, v10
	;; [unrolled: 1-line block ×17, first 2 shown]
	v_sub_f16_e32 v86, v13, v15
	v_sub_f16_e32 v90, v22, v39
	;; [unrolled: 1-line block ×5, first 2 shown]
	v_pack_b32_f16 v78, v78, v82
	v_sub_f16_e32 v82, v10, v20
	v_add_f16_e32 v22, v22, v37
	v_fma_f16 v37, v86, s13, v40
	v_fma_f16 v38, v86, s12, v40
	;; [unrolled: 1-line block ×6, first 2 shown]
	v_add_f16_e32 v38, v10, v20
	v_add_f16_e32 v88, v13, v15
	v_fma_f16 v38, v38, -0.5, v41
	v_sub_f16_e32 v10, v13, v10
	v_sub_f16_e32 v13, v15, v20
	v_add_f16_e32 v10, v10, v13
	v_fma_f16 v13, v157, s12, v38
	v_fma_f16 v15, v157, s13, v38
	v_fma_f16 v13, v90, s14, v13
	v_fma_f16 v15, v90, s6, v15
	v_fma_f16 v13, v10, s7, v13
	v_fma_f16 v10, v10, s7, v15
	v_add_f16_e32 v15, v45, v52
	v_fma_f16 v15, v15, -0.5, v58
	v_sub_f16_e32 v20, v47, v45
	v_sub_f16_e32 v38, v50, v52
	v_add_f16_e32 v20, v20, v38
	v_fma_f16 v38, v65, s13, v15
	v_fma_f16 v15, v65, s12, v15
	v_fma_f16 v38, v61, s6, v38
	v_fma_f16 v15, v61, s14, v15
	v_fma_f16 v38, v20, s7, v38
	v_fma_f16 v15, v20, s7, v15
	;; [unrolled: 11-line block ×3, first 2 shown]
	v_mul_f16_e32 v39, 0x3b9c, v40
	v_fma_f16 v39, v38, s7, v39
	v_mul_f16_e32 v38, 0xbb9c, v38
	v_fma_f16 v38, v40, s7, v38
	;; [unrolled: 2-line block ×3, first 2 shown]
	v_mul_f16_e32 v20, 0xb4f2, v20
	v_fma_f16 v88, v88, -0.5, v41
	v_fma_f16 v15, v15, s13, v20
	v_add_f16_e32 v20, v37, v39
	v_add_f16_e32 v41, v13, v38
	v_pack_b32_f16 v20, v20, v41
	v_add_f16_e32 v41, v22, v40
	v_add_f16_e32 v45, v10, v15
	v_pack_b32_f16 v41, v41, v45
	ds_write2_b32 v147, v161, v170 offset1:3
	v_fma_f16 v84, v82, s12, v23
	ds_write2_b32 v158, v20, v41 offset0:6 offset1:9
	v_fma_f16 v20, v82, s13, v23
	v_fma_f16 v84, v86, s6, v84
	v_fma_f16 v20, v86, s14, v20
	v_fma_f16 v41, v61, s13, v60
	v_fma_f16 v84, v43, s7, v84
	v_fma_f16 v149, v90, s13, v88
	v_fma_f16 v20, v43, s7, v20
	v_fma_f16 v23, v90, s12, v88
	v_fma_f16 v41, v65, s14, v41
	v_fma_f16 v43, v71, s12, v67
	v_fma_f16 v149, v157, s14, v149
	v_fma_f16 v23, v157, s6, v23
	v_fma_f16 v41, v56, s7, v41
	v_fma_f16 v43, v76, s6, v43
	v_fma_f16 v149, v44, s7, v149
	v_fma_f16 v23, v44, s7, v23
	v_fma_f16 v43, v57, s7, v43
	v_mul_f16_e32 v44, 0xba79, v41
	v_fma_f16 v44, v43, s6, v44
	v_mul_f16_e32 v43, 0xba79, v43
	v_fma_f16 v41, v41, s14, v43
	v_sub_f16_e32 v9, v9, v42
	v_sub_f16_e32 v12, v12, v74
	v_add_f16_e32 v42, v20, v44
	v_add_f16_e32 v43, v23, v41
	v_pack_b32_f16 v42, v42, v43
	v_pack_b32_f16 v9, v9, v12
	ds_write2_b32 v158, v42, v9 offset0:12 offset1:15
	v_sub_f16_e32 v9, v84, v77
	v_sub_f16_e32 v12, v37, v39
	;; [unrolled: 1-line block ×4, first 2 shown]
	v_pack_b32_f16 v9, v9, v37
	v_pack_b32_f16 v12, v12, v13
	ds_write2_b32 v158, v9, v12 offset0:18 offset1:21
	v_sub_f16_e32 v9, v22, v40
	v_sub_f16_e32 v12, v20, v44
	;; [unrolled: 1-line block ×4, first 2 shown]
	v_pack_b32_f16 v9, v9, v10
	v_pack_b32_f16 v10, v12, v13
	ds_write2_b32 v158, v9, v10 offset0:24 offset1:27
	v_lshrrev_b32_e32 v9, 16, v62
	v_mul_f16_sdwa v12, v62, v32 dst_sel:DWORD dst_unused:UNUSED_PAD src0_sel:DWORD src1_sel:WORD_1
	v_mul_f16_sdwa v10, v9, v32 dst_sel:DWORD dst_unused:UNUSED_PAD src0_sel:DWORD src1_sel:WORD_1
	v_fma_f16 v9, v9, v32, v12
	v_lshrrev_b32_e32 v12, 16, v8
	v_mul_f16_sdwa v13, v12, v33 dst_sel:DWORD dst_unused:UNUSED_PAD src0_sel:DWORD src1_sel:WORD_1
	v_fma_f16 v13, v8, v33, -v13
	v_mul_f16_sdwa v8, v8, v33 dst_sel:DWORD dst_unused:UNUSED_PAD src0_sel:DWORD src1_sel:WORD_1
	v_fma_f16 v8, v12, v33, v8
	v_lshrrev_b32_e32 v12, 16, v64
	v_mul_f16_sdwa v20, v64, v34 dst_sel:DWORD dst_unused:UNUSED_PAD src0_sel:DWORD src1_sel:WORD_1
	v_mul_f16_sdwa v15, v12, v34 dst_sel:DWORD dst_unused:UNUSED_PAD src0_sel:DWORD src1_sel:WORD_1
	v_fma_f16 v12, v12, v34, v20
	v_lshrrev_b32_e32 v20, 16, v11
	v_mul_f16_sdwa v22, v20, v35 dst_sel:DWORD dst_unused:UNUSED_PAD src0_sel:DWORD src1_sel:WORD_1
	v_fma_f16 v22, v11, v35, -v22
	v_mul_f16_sdwa v11, v11, v35 dst_sel:DWORD dst_unused:UNUSED_PAD src0_sel:DWORD src1_sel:WORD_1
	v_fma_f16 v11, v20, v35, v11
	;; [unrolled: 9-line block ×4, first 2 shown]
	v_lshrrev_b32_e32 v40, 16, v75
	v_mul_f16_sdwa v43, v75, v143 dst_sel:DWORD dst_unused:UNUSED_PAD src0_sel:DWORD src1_sel:WORD_1
	v_fma_f16 v10, v62, v32, -v10
	v_fma_f16 v15, v64, v34, -v15
	v_mul_f16_sdwa v42, v40, v143 dst_sel:DWORD dst_unused:UNUSED_PAD src0_sel:DWORD src1_sel:WORD_1
	v_fma_f16 v40, v40, v143, v43
	v_add_f16_e32 v43, v22, v38
	v_add_f16_e32 v44, v13, v41
	v_lshrrev_b32_e32 v45, 16, v36
	v_add_f16_e32 v160, v149, v63
	v_fma_f16 v23, v66, v24, -v23
	v_fma_f16 v43, v43, -0.5, v36
	v_fma_f16 v44, v44, -0.5, v36
	v_add_f16_e32 v36, v36, v13
	v_add_f16_e32 v62, v45, v8
	;; [unrolled: 1-line block ×4, first 2 shown]
	v_fma_f16 v39, v72, v26, -v39
	v_add_f16_e32 v36, v36, v22
	v_add_f16_e32 v62, v62, v11
	;; [unrolled: 1-line block ×4, first 2 shown]
	v_fma_f16 v42, v75, v143, -v42
	v_add_f16_e32 v36, v36, v38
	v_add_f16_e32 v62, v62, v14
	;; [unrolled: 1-line block ×8, first 2 shown]
	v_sub_f16_e32 v46, v13, v22
	v_add_f16_e32 v65, v36, v63
	v_add_f16_e32 v66, v62, v64
	v_sub_f16_e32 v71, v11, v14
	v_sub_f16_e32 v74, v13, v41
	;; [unrolled: 1-line block ×6, first 2 shown]
	v_pack_b32_f16 v65, v65, v66
	v_sub_f16_e32 v66, v8, v21
	v_add_f16_e32 v13, v13, v22
	v_fma_f16 v22, v71, s13, v44
	v_fma_f16 v38, v71, s12, v44
	v_fma_f16 v22, v66, s6, v22
	v_fma_f16 v38, v66, s14, v38
	v_fma_f16 v22, v13, s7, v22
	v_fma_f16 v13, v13, s7, v38
	v_add_f16_e32 v38, v8, v21
	v_add_f16_e32 v46, v46, v47
	v_sub_f16_e32 v47, v8, v11
	v_sub_f16_e32 v49, v21, v14
	v_add_f16_e32 v72, v11, v14
	v_fma_f16 v38, v38, -0.5, v45
	v_sub_f16_e32 v8, v11, v8
	v_sub_f16_e32 v11, v14, v21
	v_add_f16_e32 v47, v47, v49
	v_sub_f16_e32 v49, v15, v23
	v_sub_f16_e32 v50, v42, v39
	v_add_f16_e32 v8, v8, v11
	v_fma_f16 v11, v76, s12, v38
	v_fma_f16 v14, v76, s13, v38
	v_add_f16_e32 v49, v49, v50
	v_sub_f16_e32 v50, v12, v20
	v_sub_f16_e32 v51, v40, v37
	v_fma_f16 v11, v74, s14, v11
	v_fma_f16 v14, v74, s6, v14
	v_add_f16_e32 v50, v50, v51
	v_add_f16_e32 v51, v23, v39
	v_fma_f16 v11, v8, s7, v11
	v_fma_f16 v8, v8, s7, v14
	v_add_f16_e32 v14, v15, v42
	v_fma_f16 v51, v51, -0.5, v10
	v_sub_f16_e32 v56, v20, v37
	v_sub_f16_e32 v58, v15, v42
	v_fma_f16 v10, v14, -0.5, v10
	v_sub_f16_e32 v14, v23, v15
	v_sub_f16_e32 v15, v39, v42
	v_sub_f16_e32 v52, v12, v40
	v_add_f16_e32 v14, v14, v15
	v_fma_f16 v15, v56, s13, v10
	v_fma_f16 v10, v56, s12, v10
	;; [unrolled: 1-line block ×4, first 2 shown]
	v_add_f16_e32 v57, v20, v37
	v_fma_f16 v15, v14, s7, v15
	v_fma_f16 v10, v14, s7, v10
	v_add_f16_e32 v14, v12, v40
	v_fma_f16 v57, v57, -0.5, v9
	v_sub_f16_e32 v60, v23, v39
	v_fma_f16 v9, v14, -0.5, v9
	v_sub_f16_e32 v12, v20, v12
	v_sub_f16_e32 v14, v37, v40
	v_add_f16_e32 v12, v12, v14
	v_fma_f16 v14, v60, s12, v9
	v_fma_f16 v14, v58, s14, v14
	;; [unrolled: 1-line block ×6, first 2 shown]
	v_mul_f16_e32 v12, 0x3b9c, v14
	v_fma_f16 v12, v15, s7, v12
	v_mul_f16_e32 v15, 0xbb9c, v15
	v_fma_f16 v59, v58, s13, v57
	v_fma_f16 v14, v14, s7, v15
	v_mul_f16_e32 v15, 0xb4f2, v10
	v_fma_f16 v55, v52, s12, v51
	v_fma_f16 v59, v60, s14, v59
	;; [unrolled: 1-line block ×3, first 2 shown]
	v_mul_f16_e32 v9, 0xb4f2, v9
	v_fma_f16 v55, v56, s6, v55
	v_fma_f16 v59, v50, s7, v59
	;; [unrolled: 1-line block ×3, first 2 shown]
	v_add_f16_e32 v10, v22, v12
	v_add_f16_e32 v20, v11, v14
	v_fma_f16 v55, v49, s7, v55
	v_mul_f16_e32 v61, 0x38b4, v59
	v_pack_b32_f16 v10, v10, v20
	v_add_f16_e32 v20, v13, v15
	v_add_f16_e32 v21, v8, v9
	v_fma_f16 v61, v55, s15, v61
	v_mul_f16_e32 v55, 0xb8b4, v55
	v_pack_b32_f16 v20, v20, v21
	v_fma_f16 v21, v52, s13, v51
	v_add_f16_e32 v159, v84, v77
	v_fma_f16 v55, v59, s15, v55
	v_mad_legacy_u16 v59, v171, 30, v172
	v_fma_f16 v21, v56, s14, v21
	v_fma_f16 v23, v58, s12, v57
	v_pack_b32_f16 v159, v159, v160
	v_fma_f16 v72, v72, -0.5, v45
	v_lshlrev_b32_e32 v160, 2, v59
	v_fma_f16 v21, v49, s7, v21
	v_fma_f16 v23, v60, s6, v23
	ds_write2_b32 v158, v78, v159 offset1:3
	ds_write2_b32 v160, v10, v20 offset0:6 offset1:9
	v_fma_f16 v10, v66, s13, v43
	v_fma_f16 v20, v74, s12, v72
	;; [unrolled: 1-line block ×3, first 2 shown]
	v_mul_f16_e32 v37, 0xba79, v21
	v_fma_f16 v10, v71, s14, v10
	v_fma_f16 v20, v76, s6, v20
	v_fma_f16 v37, v23, s6, v37
	v_mul_f16_e32 v23, 0xba79, v23
	v_fma_f16 v67, v66, s12, v43
	v_fma_f16 v75, v74, s13, v72
	;; [unrolled: 1-line block ×7, first 2 shown]
	v_sub_f16_e32 v23, v36, v63
	v_sub_f16_e32 v36, v62, v64
	v_add_f16_e32 v38, v10, v37
	v_add_f16_e32 v39, v20, v21
	v_fma_f16 v67, v46, s7, v67
	v_fma_f16 v75, v47, s7, v75
	v_pack_b32_f16 v38, v38, v39
	v_pack_b32_f16 v23, v23, v36
	ds_write2_b32 v160, v38, v23 offset0:12 offset1:15
	v_sub_f16_e32 v23, v67, v61
	v_sub_f16_e32 v12, v22, v12
	;; [unrolled: 1-line block ×4, first 2 shown]
	v_pack_b32_f16 v14, v23, v22
	v_pack_b32_f16 v11, v12, v11
	ds_write2_b32 v160, v14, v11 offset0:18 offset1:21
	v_sub_f16_e32 v11, v13, v15
	v_sub_f16_e32 v10, v10, v37
	;; [unrolled: 1-line block ×4, first 2 shown]
	v_pack_b32_f16 v8, v11, v8
	v_pack_b32_f16 v9, v10, v9
	s_movk_i32 s16, 0x89
	ds_write2_b32 v160, v8, v9 offset0:24 offset1:27
	v_mul_lo_u16_sdwa v8, v130, s16 dst_sel:DWORD dst_unused:UNUSED_PAD src0_sel:BYTE_0 src1_sel:DWORD
	v_lshrrev_b16_e32 v36, 12, v8
	v_mul_lo_u16_e32 v8, 30, v36
	v_sub_u16_e32 v8, v130, v8
	v_and_b32_e32 v37, 0xff, v8
	v_mad_u64_u32 v[20:21], s[18:19], v37, 36, s[2:3]
	v_add_f16_e32 v77, v67, v61
	v_add_f16_e32 v78, v75, v55
	v_pack_b32_f16 v77, v77, v78
	ds_write2_b32 v160, v65, v77 offset1:3
	s_waitcnt lgkmcnt(0)
	s_barrier
	global_load_dwordx4 v[12:15], v[20:21], off offset:108
	global_load_dwordx4 v[8:11], v[20:21], off offset:124
	global_load_dword v157, v[20:21], off offset:140
	ds_read2_b32 v[58:59], v111 offset0:28 offset1:118
	ds_read2_b32 v[60:61], v128 offset0:56 offset1:146
	;; [unrolled: 1-line block ×5, first 2 shown]
	s_waitcnt lgkmcnt(4)
	v_lshrrev_b32_e32 v20, 16, v58
	ds_read2_b32 v[51:52], v121 offset0:108 offset1:198
	ds_read2_b32 v[55:56], v135 offset0:8 offset1:98
	ds_read2_b32 v[165:166], v134 offset1:90
	ds_read2_b32 v[66:67], v132 offset0:52 offset1:142
	v_mul_u32_u24_e32 v36, 0x12c, v36
	v_add_lshl_u32 v159, v36, v37, 2
	s_waitcnt lgkmcnt(1)
	v_lshrrev_b32_e32 v187, 16, v165
	s_waitcnt vmcnt(2)
	v_mul_f16_sdwa v21, v58, v13 dst_sel:DWORD dst_unused:UNUSED_PAD src0_sel:DWORD src1_sel:WORD_1
	v_fma_f16 v71, v20, v13, v21
	v_mul_f16_sdwa v20, v20, v13 dst_sel:DWORD dst_unused:UNUSED_PAD src0_sel:DWORD src1_sel:WORD_1
	v_fma_f16 v74, v58, v13, -v20
	v_lshrrev_b32_e32 v20, 16, v60
	v_mul_f16_sdwa v21, v60, v15 dst_sel:DWORD dst_unused:UNUSED_PAD src0_sel:DWORD src1_sel:WORD_1
	v_fma_f16 v72, v20, v15, v21
	v_mul_f16_sdwa v20, v20, v15 dst_sel:DWORD dst_unused:UNUSED_PAD src0_sel:DWORD src1_sel:WORD_1
	v_fma_f16 v75, v60, v15, -v20
	v_lshrrev_b32_e32 v20, 16, v62
	s_waitcnt vmcnt(1)
	v_mul_f16_sdwa v21, v62, v9 dst_sel:DWORD dst_unused:UNUSED_PAD src0_sel:DWORD src1_sel:WORD_1
	v_fma_f16 v60, v20, v9, v21
	v_mul_f16_sdwa v20, v20, v9 dst_sel:DWORD dst_unused:UNUSED_PAD src0_sel:DWORD src1_sel:WORD_1
	v_fma_f16 v76, v62, v9, -v20
	v_lshrrev_b32_e32 v20, 16, v64
	v_mul_f16_sdwa v21, v64, v11 dst_sel:DWORD dst_unused:UNUSED_PAD src0_sel:DWORD src1_sel:WORD_1
	v_fma_f16 v62, v20, v11, v21
	v_mul_f16_sdwa v20, v20, v11 dst_sel:DWORD dst_unused:UNUSED_PAD src0_sel:DWORD src1_sel:WORD_1
	v_fma_f16 v64, v64, v11, -v20
	v_sub_f16_e32 v20, v74, v75
	v_sub_f16_e32 v21, v64, v76
	v_add_f16_e32 v77, v20, v21
	v_sub_f16_e32 v20, v71, v72
	v_sub_f16_e32 v21, v62, v60
	v_add_f16_e32 v78, v20, v21
	v_lshrrev_b32_e32 v20, 16, v50
	v_mul_f16_sdwa v21, v50, v14 dst_sel:DWORD dst_unused:UNUSED_PAD src0_sel:DWORD src1_sel:WORD_1
	ds_read2_b32 v[57:58], v106 offset0:36 offset1:126
	v_fma_f16 v82, v20, v14, v21
	v_mul_f16_sdwa v20, v20, v14 dst_sel:DWORD dst_unused:UNUSED_PAD src0_sel:DWORD src1_sel:WORD_1
	v_fma_f16 v86, v50, v14, -v20
	v_lshrrev_b32_e32 v20, 16, v52
	v_mul_f16_sdwa v21, v52, v8 dst_sel:DWORD dst_unused:UNUSED_PAD src0_sel:DWORD src1_sel:WORD_1
	v_fma_f16 v84, v20, v8, v21
	v_mul_f16_sdwa v20, v20, v8 dst_sel:DWORD dst_unused:UNUSED_PAD src0_sel:DWORD src1_sel:WORD_1
	v_fma_f16 v90, v52, v8, -v20
	v_lshrrev_b32_e32 v20, 16, v56
	v_mul_f16_sdwa v21, v56, v10 dst_sel:DWORD dst_unused:UNUSED_PAD src0_sel:DWORD src1_sel:WORD_1
	v_fma_f16 v88, v20, v10, v21
	v_mul_f16_sdwa v20, v20, v10 dst_sel:DWORD dst_unused:UNUSED_PAD src0_sel:DWORD src1_sel:WORD_1
	s_waitcnt lgkmcnt(0)
	v_lshrrev_b32_e32 v40, 16, v58
	s_waitcnt vmcnt(0)
	v_mul_f16_sdwa v41, v58, v157 dst_sel:DWORD dst_unused:UNUSED_PAD src0_sel:DWORD src1_sel:WORD_1
	v_fma_f16 v162, v56, v10, -v20
	v_fma_f16 v56, v40, v157, v41
	v_mul_f16_sdwa v40, v40, v157 dst_sel:DWORD dst_unused:UNUSED_PAD src0_sel:DWORD src1_sel:WORD_1
	v_fma_f16 v58, v58, v157, -v40
	v_add_f16_e32 v36, v165, v74
	v_sub_f16_e32 v40, v86, v90
	v_sub_f16_e32 v41, v58, v162
	v_add_f16_e32 v36, v36, v75
	v_add_f16_e32 v163, v40, v41
	v_sub_f16_e32 v40, v82, v84
	v_sub_f16_e32 v41, v56, v88
	v_add_f16_e32 v36, v36, v76
	v_add_f16_e32 v164, v40, v41
	v_lshrrev_b32_e32 v40, 16, v67
	v_mul_f16_sdwa v41, v67, v12 dst_sel:DWORD dst_unused:UNUSED_PAD src0_sel:DWORD src1_sel:WORD_1
	v_add_f16_e32 v186, v36, v64
	v_add_f16_e32 v36, v187, v71
	v_fma_f16 v177, v40, v12, v41
	v_mul_f16_sdwa v40, v40, v12 dst_sel:DWORD dst_unused:UNUSED_PAD src0_sel:DWORD src1_sel:WORD_1
	v_add_f16_e32 v36, v36, v72
	v_fma_f16 v67, v67, v12, -v40
	v_add_f16_e32 v36, v36, v60
	v_add_f16_e32 v188, v36, v62
	v_add_f16_e32 v36, v67, v86
	v_add_f16_e32 v36, v36, v90
	v_add_f16_e32 v36, v36, v162
	v_add_f16_e32 v189, v36, v58
	v_add_f16_e32 v36, v177, v82
	v_add_f16_e32 v36, v36, v84
	v_add_f16_e32 v36, v36, v88
	v_add_f16_e32 v190, v36, v56
	v_add_f16_e32 v36, v186, v189
	v_add_f16_e32 v37, v188, v190
	v_pack_b32_f16 v191, v36, v37
	v_add_f16_e32 v36, v75, v76
	v_add_f16_e32 v41, v84, v88
	v_fma_f16 v192, v36, -0.5, v165
	v_sub_f16_e32 v193, v71, v62
	v_mul_lo_u16_sdwa v21, v69, s16 dst_sel:DWORD dst_unused:UNUSED_PAD src0_sel:BYTE_0 src1_sel:DWORD
	v_add_f16_e32 v40, v90, v162
	v_fma_f16 v181, v41, -0.5, v177
	v_sub_f16_e32 v182, v86, v58
	v_fma_f16 v36, v193, s12, v192
	v_sub_f16_e32 v194, v72, v60
	v_lshrrev_b16_e32 v50, 12, v21
	v_fma_f16 v178, v40, -0.5, v67
	v_sub_f16_e32 v179, v82, v56
	v_fma_f16 v41, v182, s13, v181
	v_sub_f16_e32 v183, v90, v162
	v_fma_f16 v36, v194, s6, v36
	v_mul_lo_u16_e32 v21, 30, v50
	v_fma_f16 v40, v179, s12, v178
	v_sub_f16_e32 v180, v84, v88
	v_fma_f16 v41, v183, s14, v41
	v_fma_f16 v195, v77, s7, v36
	v_add_f16_e32 v36, v72, v60
	v_sub_u16_e32 v21, v69, v21
	v_fma_f16 v40, v180, s6, v40
	v_fma_f16 v41, v164, s7, v41
	v_fma_f16 v196, v36, -0.5, v187
	v_sub_f16_e32 v197, v74, v64
	v_and_b32_e32 v52, 0xff, v21
	v_fma_f16 v40, v163, s7, v40
	v_mul_f16_e32 v42, 0x38b4, v41
	v_fma_f16 v36, v197, s13, v196
	v_sub_f16_e32 v198, v75, v76
	v_mad_u64_u32 v[38:39], s[16:17], v52, 36, s[2:3]
	v_fma_f16 v184, v40, s15, v42
	v_mul_f16_e32 v40, 0xb8b4, v40
	v_fma_f16 v36, v198, s14, v36
	v_fma_f16 v185, v41, s15, v40
	;; [unrolled: 1-line block ×3, first 2 shown]
	v_add_f16_e32 v36, v195, v184
	v_add_f16_e32 v37, v199, v185
	s_mov_b32 s16, 0x8889
	v_pack_b32_f16 v200, v36, v37
	v_mul_u32_u24_sdwa v36, v68, s16 dst_sel:DWORD dst_unused:UNUSED_PAD src0_sel:WORD_0 src1_sel:DWORD
	global_load_dwordx4 v[20:23], v[38:39], off offset:108
	v_lshrrev_b32_e32 v201, 20, v36
	v_mul_lo_u16_e32 v36, 30, v201
	v_sub_u16_e32 v202, v68, v36
	v_mul_lo_u16_e32 v36, 36, v202
	v_add_co_u32_e32 v36, vcc, s2, v36
	v_addc_co_u32_e32 v37, vcc, 0, v73, vcc
	global_load_dword v149, v[36:37], off offset:140
	global_load_dword v161, v[38:39], off offset:140
	global_load_dwordx4 v[40:43], v[38:39], off offset:124
	v_sub_f16_e32 v75, v75, v74
	v_add_f16_e32 v74, v74, v64
	v_sub_f16_e32 v64, v76, v64
	v_fma_f16 v74, v74, -0.5, v165
	v_add_f16_e32 v64, v75, v64
	v_fma_f16 v75, v194, s13, v74
	v_fma_f16 v74, v194, s12, v74
	v_fma_f16 v75, v193, s6, v75
	v_fma_f16 v74, v193, s14, v74
	v_fma_f16 v75, v64, s7, v75
	v_fma_f16 v64, v64, s7, v74
	v_add_f16_e32 v74, v71, v62
	v_fma_f16 v74, v74, -0.5, v187
	v_sub_f16_e32 v71, v72, v71
	v_sub_f16_e32 v60, v60, v62
	v_add_f16_e32 v60, v71, v60
	v_fma_f16 v62, v198, s12, v74
	v_fma_f16 v71, v198, s13, v74
	v_fma_f16 v62, v197, s14, v62
	v_fma_f16 v71, v197, s6, v71
	v_fma_f16 v62, v60, s7, v62
	v_fma_f16 v60, v60, s7, v71
	v_add_f16_e32 v71, v86, v58
	v_fma_f16 v67, v71, -0.5, v67
	v_sub_f16_e32 v71, v90, v86
	v_sub_f16_e32 v58, v162, v58
	;; [unrolled: 11-line block ×3, first 2 shown]
	v_add_f16_e32 v56, v72, v56
	v_fma_f16 v72, v183, s12, v67
	v_fma_f16 v72, v182, s14, v72
	;; [unrolled: 1-line block ×6, first 2 shown]
	v_mul_f16_e32 v67, 0x3b9c, v72
	v_fma_f16 v67, v71, s7, v67
	v_mul_f16_e32 v71, 0xbb9c, v71
	v_fma_f16 v71, v72, s7, v71
	;; [unrolled: 2-line block ×4, first 2 shown]
	v_add_f16_e32 v58, v75, v67
	v_add_f16_e32 v74, v62, v71
	v_pack_b32_f16 v58, v58, v74
	v_add_f16_e32 v74, v64, v72
	v_add_f16_e32 v76, v60, v56
	v_pack_b32_f16 v74, v74, v76
	ds_read2_b32 v[167:168], v118 offset0:104 offset1:194
	ds_read2_b32 v[169:170], v136 offset0:132 offset1:222
	;; [unrolled: 1-line block ×5, first 2 shown]
	global_load_dwordx4 v[44:47], v[36:37], off offset:108
	s_nop 0
	global_load_dwordx4 v[36:39], v[36:37], off offset:124
	s_waitcnt vmcnt(0) lgkmcnt(0)
	s_barrier
	ds_write2_b32 v159, v58, v74 offset0:60 offset1:90
	v_fma_f16 v58, v193, s13, v192
	v_fma_f16 v58, v194, s14, v58
	;; [unrolled: 1-line block ×12, first 2 shown]
	v_mul_f16_e32 v78, 0xba79, v76
	v_fma_f16 v78, v77, s6, v78
	v_mul_f16_e32 v77, 0xba79, v77
	v_fma_f16 v76, v76, s14, v77
	v_sub_f16_e32 v77, v186, v189
	v_sub_f16_e32 v82, v188, v190
	v_add_f16_e32 v84, v58, v78
	v_add_f16_e32 v86, v74, v76
	v_pack_b32_f16 v84, v84, v86
	v_pack_b32_f16 v77, v77, v82
	ds_write2_b32 v159, v84, v77 offset0:120 offset1:150
	v_sub_f16_e32 v77, v195, v184
	v_sub_f16_e32 v67, v75, v67
	;; [unrolled: 1-line block ×4, first 2 shown]
	v_pack_b32_f16 v71, v77, v75
	v_pack_b32_f16 v62, v67, v62
	ds_write2_b32 v159, v71, v62 offset0:180 offset1:210
	v_sub_f16_e32 v62, v64, v72
	v_sub_f16_e32 v58, v58, v78
	;; [unrolled: 1-line block ×4, first 2 shown]
	v_pack_b32_f16 v56, v62, v56
	v_pack_b32_f16 v58, v58, v60
	v_add_u32_e32 v164, 0x200, v159
	ds_write2_b32 v164, v56, v58 offset0:112 offset1:142
	v_lshrrev_b32_e32 v56, 16, v59
	v_mul_f16_sdwa v58, v56, v21 dst_sel:DWORD dst_unused:UNUSED_PAD src0_sel:DWORD src1_sel:WORD_1
	v_fma_f16 v58, v59, v21, -v58
	v_mul_f16_sdwa v59, v59, v21 dst_sel:DWORD dst_unused:UNUSED_PAD src0_sel:DWORD src1_sel:WORD_1
	v_fma_f16 v56, v56, v21, v59
	v_lshrrev_b32_e32 v59, 16, v61
	v_mul_f16_sdwa v60, v59, v23 dst_sel:DWORD dst_unused:UNUSED_PAD src0_sel:DWORD src1_sel:WORD_1
	v_fma_f16 v60, v61, v23, -v60
	v_mul_f16_sdwa v61, v61, v23 dst_sel:DWORD dst_unused:UNUSED_PAD src0_sel:DWORD src1_sel:WORD_1
	v_fma_f16 v59, v59, v23, v61
	;; [unrolled: 5-line block ×4, first 2 shown]
	v_sub_f16_e32 v74, v58, v60
	v_sub_f16_e32 v75, v64, v62
	v_add_f16_e32 v74, v74, v75
	v_sub_f16_e32 v75, v56, v59
	v_sub_f16_e32 v76, v63, v61
	v_add_f16_e32 v75, v75, v76
	v_lshrrev_b32_e32 v76, 16, v169
	v_mul_f16_sdwa v77, v169, v22 dst_sel:DWORD dst_unused:UNUSED_PAD src0_sel:DWORD src1_sel:WORD_1
	v_lshrrev_b32_e32 v78, 16, v171
	v_mul_f16_sdwa v82, v171, v40 dst_sel:DWORD dst_unused:UNUSED_PAD src0_sel:DWORD src1_sel:WORD_1
	;; [unrolled: 2-line block ×4, first 2 shown]
	v_fma_f16 v77, v76, v22, v77
	v_mul_f16_sdwa v76, v76, v22 dst_sel:DWORD dst_unused:UNUSED_PAD src0_sel:DWORD src1_sel:WORD_1
	v_fma_f16 v82, v78, v40, v82
	v_mul_f16_sdwa v78, v78, v40 dst_sel:DWORD dst_unused:UNUSED_PAD src0_sel:DWORD src1_sel:WORD_1
	;; [unrolled: 2-line block ×4, first 2 shown]
	v_fma_f16 v76, v169, v22, -v76
	v_fma_f16 v78, v171, v40, -v78
	;; [unrolled: 1-line block ×4, first 2 shown]
	v_sub_f16_e32 v162, v76, v78
	v_sub_f16_e32 v163, v88, v84
	v_add_f16_e32 v65, v60, v62
	v_add_f16_e32 v67, v58, v64
	;; [unrolled: 1-line block ×3, first 2 shown]
	v_sub_f16_e32 v162, v77, v82
	v_sub_f16_e32 v165, v90, v86
	v_fma_f16 v65, v65, -0.5, v166
	v_fma_f16 v67, v67, -0.5, v166
	v_lshrrev_b32_e32 v71, 16, v166
	v_add_f16_e32 v72, v166, v58
	v_add_f16_e32 v165, v162, v165
	v_lshrrev_b32_e32 v162, 16, v167
	v_mul_f16_sdwa v166, v167, v20 dst_sel:DWORD dst_unused:UNUSED_PAD src0_sel:DWORD src1_sel:WORD_1
	v_fma_f16 v166, v162, v20, v166
	v_mul_f16_sdwa v162, v162, v20 dst_sel:DWORD dst_unused:UNUSED_PAD src0_sel:DWORD src1_sel:WORD_1
	v_add_f16_e32 v175, v82, v86
	v_fma_f16 v167, v167, v20, -v162
	v_add_f16_e32 v162, v78, v84
	v_fma_f16 v175, v175, -0.5, v166
	v_sub_f16_e32 v177, v76, v88
	v_fma_f16 v169, v162, -0.5, v167
	v_sub_f16_e32 v171, v77, v90
	v_fma_f16 v178, v177, s13, v175
	v_sub_f16_e32 v179, v78, v84
	v_fma_f16 v162, v171, s12, v169
	;; [unrolled: 2-line block ×3, first 2 shown]
	v_fma_f16 v162, v173, s6, v162
	v_fma_f16 v178, v165, s7, v178
	;; [unrolled: 1-line block ×3, first 2 shown]
	v_mul_f16_e32 v180, 0x38b4, v178
	v_fma_f16 v180, v162, s15, v180
	v_mul_f16_e32 v162, 0xb8b4, v162
	v_mul_u32_u24_e32 v50, 0x12c, v50
	v_fma_f16 v178, v178, s15, v162
	v_add_lshl_u32 v162, v50, v52, 2
	v_add_f16_e32 v50, v72, v60
	v_add_f16_e32 v52, v71, v56
	;; [unrolled: 1-line block ×17, first 2 shown]
	v_sub_f16_e32 v185, v59, v61
	v_sub_f16_e32 v187, v58, v64
	v_sub_f16_e32 v189, v60, v62
	v_sub_f16_e32 v58, v60, v58
	v_sub_f16_e32 v60, v62, v64
	v_pack_b32_f16 v182, v182, v183
	v_sub_f16_e32 v183, v56, v63
	v_add_f16_e32 v58, v58, v60
	v_fma_f16 v60, v185, s13, v67
	v_fma_f16 v62, v185, s12, v67
	;; [unrolled: 1-line block ×6, first 2 shown]
	v_add_f16_e32 v62, v56, v63
	v_add_f16_e32 v186, v59, v61
	v_fma_f16 v62, v62, -0.5, v71
	v_sub_f16_e32 v56, v59, v56
	v_sub_f16_e32 v59, v61, v63
	v_add_f16_e32 v56, v56, v59
	v_fma_f16 v59, v189, s12, v62
	v_fma_f16 v61, v189, s13, v62
	v_fma_f16 v59, v187, s14, v59
	v_fma_f16 v61, v187, s6, v61
	v_fma_f16 v59, v56, s7, v59
	v_fma_f16 v56, v56, s7, v61
	v_add_f16_e32 v61, v76, v88
	v_fma_f16 v61, v61, -0.5, v167
	v_sub_f16_e32 v62, v78, v76
	v_sub_f16_e32 v63, v84, v88
	v_add_f16_e32 v62, v62, v63
	v_fma_f16 v63, v173, s13, v61
	v_fma_f16 v61, v173, s12, v61
	v_fma_f16 v63, v171, s6, v63
	v_fma_f16 v61, v171, s14, v61
	v_fma_f16 v63, v62, s7, v63
	v_fma_f16 v61, v62, s7, v61
	;; [unrolled: 11-line block ×3, first 2 shown]
	v_mul_f16_e32 v64, 0x3b9c, v67
	v_fma_f16 v64, v63, s7, v64
	v_mul_f16_e32 v63, 0xbb9c, v63
	v_fma_f16 v63, v67, s7, v63
	;; [unrolled: 2-line block ×3, first 2 shown]
	v_mul_f16_e32 v62, 0xb4f2, v62
	v_fma_f16 v186, v186, -0.5, v71
	v_fma_f16 v61, v61, s13, v62
	v_add_f16_e32 v62, v60, v64
	v_add_f16_e32 v71, v59, v63
	v_pack_b32_f16 v62, v62, v71
	v_add_f16_e32 v71, v58, v67
	v_add_f16_e32 v76, v56, v61
	v_pack_b32_f16 v71, v71, v76
	ds_write2_b32 v159, v191, v200 offset1:30
	v_fma_f16 v184, v183, s12, v65
	ds_write2_b32 v162, v62, v71 offset0:60 offset1:90
	v_fma_f16 v62, v183, s13, v65
	v_fma_f16 v184, v185, s6, v184
	;; [unrolled: 1-line block ×17, first 2 shown]
	v_mul_f16_e32 v75, 0xba79, v71
	v_fma_f16 v75, v74, s6, v75
	v_mul_f16_e32 v74, 0xba79, v74
	v_fma_f16 v71, v71, s14, v74
	v_sub_f16_e32 v50, v50, v72
	v_sub_f16_e32 v52, v52, v181
	v_add_f16_e32 v72, v62, v75
	v_add_f16_e32 v74, v65, v71
	v_pack_b32_f16 v72, v72, v74
	v_pack_b32_f16 v50, v50, v52
	ds_write2_b32 v162, v72, v50 offset0:120 offset1:150
	v_sub_f16_e32 v50, v184, v180
	v_sub_f16_e32 v52, v60, v64
	;; [unrolled: 1-line block ×4, first 2 shown]
	v_pack_b32_f16 v50, v50, v60
	v_pack_b32_f16 v52, v52, v59
	ds_write2_b32 v162, v50, v52 offset0:180 offset1:210
	v_sub_f16_e32 v50, v58, v67
	v_sub_f16_e32 v52, v62, v75
	;; [unrolled: 1-line block ×4, first 2 shown]
	v_pack_b32_f16 v50, v50, v56
	v_pack_b32_f16 v52, v52, v58
	v_add_u32_e32 v165, 0x200, v162
	ds_write2_b32 v165, v50, v52 offset0:112 offset1:142
	v_lshrrev_b32_e32 v50, 16, v168
	v_mul_f16_sdwa v56, v168, v44 dst_sel:DWORD dst_unused:UNUSED_PAD src0_sel:DWORD src1_sel:WORD_1
	v_mul_f16_sdwa v52, v50, v44 dst_sel:DWORD dst_unused:UNUSED_PAD src0_sel:DWORD src1_sel:WORD_1
	v_fma_f16 v50, v50, v44, v56
	v_lshrrev_b32_e32 v56, 16, v49
	v_mul_f16_sdwa v58, v56, v45 dst_sel:DWORD dst_unused:UNUSED_PAD src0_sel:DWORD src1_sel:WORD_1
	v_fma_f16 v58, v49, v45, -v58
	v_mul_f16_sdwa v49, v49, v45 dst_sel:DWORD dst_unused:UNUSED_PAD src0_sel:DWORD src1_sel:WORD_1
	v_fma_f16 v49, v56, v45, v49
	v_lshrrev_b32_e32 v56, 16, v170
	v_mul_f16_sdwa v60, v170, v46 dst_sel:DWORD dst_unused:UNUSED_PAD src0_sel:DWORD src1_sel:WORD_1
	v_mul_f16_sdwa v59, v56, v46 dst_sel:DWORD dst_unused:UNUSED_PAD src0_sel:DWORD src1_sel:WORD_1
	v_fma_f16 v56, v56, v46, v60
	v_lshrrev_b32_e32 v60, 16, v51
	v_mul_f16_sdwa v61, v60, v47 dst_sel:DWORD dst_unused:UNUSED_PAD src0_sel:DWORD src1_sel:WORD_1
	v_fma_f16 v61, v51, v47, -v61
	v_mul_f16_sdwa v51, v51, v47 dst_sel:DWORD dst_unused:UNUSED_PAD src0_sel:DWORD src1_sel:WORD_1
	v_fma_f16 v51, v60, v47, v51
	;; [unrolled: 9-line block ×4, first 2 shown]
	v_lshrrev_b32_e32 v67, 16, v176
	v_mul_f16_sdwa v74, v176, v149 dst_sel:DWORD dst_unused:UNUSED_PAD src0_sel:DWORD src1_sel:WORD_1
	v_fma_f16 v52, v168, v44, -v52
	v_fma_f16 v59, v170, v46, -v59
	v_mul_f16_sdwa v72, v67, v149 dst_sel:DWORD dst_unused:UNUSED_PAD src0_sel:DWORD src1_sel:WORD_1
	v_fma_f16 v67, v67, v149, v74
	v_add_f16_e32 v74, v61, v64
	v_add_f16_e32 v75, v58, v71
	v_lshrrev_b32_e32 v76, 16, v66
	v_fma_f16 v62, v172, v36, -v62
	v_fma_f16 v74, v74, -0.5, v66
	v_fma_f16 v75, v75, -0.5, v66
	v_add_f16_e32 v66, v66, v58
	v_add_f16_e32 v171, v76, v49
	;; [unrolled: 1-line block ×4, first 2 shown]
	v_fma_f16 v65, v174, v38, -v65
	v_add_f16_e32 v66, v66, v61
	v_add_f16_e32 v171, v171, v51
	;; [unrolled: 1-line block ×4, first 2 shown]
	v_fma_f16 v72, v176, v149, -v72
	v_add_f16_e32 v66, v66, v64
	v_add_f16_e32 v171, v171, v55
	;; [unrolled: 1-line block ×8, first 2 shown]
	v_sub_f16_e32 v77, v58, v61
	v_add_f16_e32 v174, v66, v172
	v_add_f16_e32 v175, v171, v173
	v_sub_f16_e32 v177, v51, v55
	v_sub_f16_e32 v179, v58, v71
	;; [unrolled: 1-line block ×6, first 2 shown]
	v_pack_b32_f16 v174, v174, v175
	v_sub_f16_e32 v175, v49, v57
	v_add_f16_e32 v58, v58, v61
	v_fma_f16 v61, v177, s13, v75
	v_fma_f16 v64, v177, s12, v75
	;; [unrolled: 1-line block ×6, first 2 shown]
	v_add_f16_e32 v64, v49, v57
	v_add_f16_e32 v191, v188, v178
	;; [unrolled: 1-line block ×3, first 2 shown]
	v_sub_f16_e32 v78, v49, v51
	v_sub_f16_e32 v82, v57, v55
	v_add_f16_e32 v178, v51, v55
	v_fma_f16 v64, v64, -0.5, v76
	v_sub_f16_e32 v49, v51, v49
	v_sub_f16_e32 v51, v55, v57
	v_add_f16_e32 v78, v78, v82
	v_sub_f16_e32 v82, v59, v62
	v_sub_f16_e32 v84, v72, v65
	v_add_f16_e32 v49, v49, v51
	v_fma_f16 v51, v181, s12, v64
	v_fma_f16 v55, v181, s13, v64
	v_add_f16_e32 v82, v82, v84
	v_sub_f16_e32 v84, v56, v60
	v_sub_f16_e32 v86, v67, v63
	v_fma_f16 v51, v179, s14, v51
	v_fma_f16 v55, v179, s6, v55
	v_add_f16_e32 v84, v84, v86
	v_add_f16_e32 v86, v62, v65
	v_fma_f16 v51, v49, s7, v51
	v_fma_f16 v49, v49, s7, v55
	v_add_f16_e32 v55, v59, v72
	v_fma_f16 v86, v86, -0.5, v52
	v_sub_f16_e32 v166, v60, v63
	v_fma_f16 v52, v55, -0.5, v52
	v_sub_f16_e32 v55, v62, v59
	v_sub_f16_e32 v57, v65, v72
	;; [unrolled: 1-line block ×3, first 2 shown]
	v_add_f16_e32 v55, v55, v57
	v_fma_f16 v57, v166, s13, v52
	v_fma_f16 v52, v166, s12, v52
	;; [unrolled: 1-line block ×4, first 2 shown]
	v_add_f16_e32 v163, v60, v63
	v_fma_f16 v57, v55, s7, v57
	v_fma_f16 v52, v55, s7, v52
	v_add_f16_e32 v55, v56, v67
	v_fma_f16 v167, v163, -0.5, v50
	v_sub_f16_e32 v169, v62, v65
	v_fma_f16 v50, v55, -0.5, v50
	v_sub_f16_e32 v55, v60, v56
	v_sub_f16_e32 v56, v63, v67
	;; [unrolled: 1-line block ×3, first 2 shown]
	v_add_f16_e32 v55, v55, v56
	v_fma_f16 v56, v169, s12, v50
	v_fma_f16 v56, v168, s14, v56
	;; [unrolled: 1-line block ×6, first 2 shown]
	v_mul_f16_e32 v55, 0x3b9c, v56
	v_fma_f16 v55, v57, s7, v55
	v_mul_f16_e32 v57, 0xbb9c, v57
	v_fma_f16 v163, v168, s13, v167
	v_fma_f16 v56, v56, s7, v57
	v_mul_f16_e32 v57, 0xb4f2, v52
	v_fma_f16 v90, v88, s12, v86
	v_fma_f16 v163, v169, s14, v163
	;; [unrolled: 1-line block ×3, first 2 shown]
	v_mul_f16_e32 v50, 0xb4f2, v50
	v_fma_f16 v90, v166, s6, v90
	v_fma_f16 v163, v84, s7, v163
	;; [unrolled: 1-line block ×3, first 2 shown]
	v_add_f16_e32 v52, v61, v55
	v_add_f16_e32 v59, v51, v56
	v_fma_f16 v90, v82, s7, v90
	v_mul_f16_e32 v170, 0x38b4, v163
	v_pack_b32_f16 v52, v52, v59
	v_add_f16_e32 v59, v58, v57
	v_add_f16_e32 v60, v49, v50
	v_fma_f16 v170, v90, s15, v170
	v_mul_f16_e32 v90, 0xb8b4, v90
	s_movk_i32 s16, 0x12c
	v_pack_b32_f16 v59, v59, v60
	v_fma_f16 v60, v88, s13, v86
	v_add_f16_e32 v190, v184, v180
	v_fma_f16 v90, v163, s15, v90
	v_mad_legacy_u16 v163, v201, s16, v202
	v_fma_f16 v60, v166, s14, v60
	v_fma_f16 v62, v168, s12, v167
	v_pack_b32_f16 v190, v190, v191
	v_fma_f16 v178, v178, -0.5, v76
	v_lshlrev_b32_e32 v163, 2, v163
	v_fma_f16 v60, v82, s7, v60
	v_fma_f16 v62, v169, s6, v62
	ds_write2_b32 v162, v182, v190 offset1:30
	ds_write2_b32 v163, v52, v59 offset0:60 offset1:90
	v_fma_f16 v52, v175, s13, v74
	v_fma_f16 v59, v179, s12, v178
	;; [unrolled: 1-line block ×3, first 2 shown]
	v_mul_f16_e32 v63, 0xba79, v60
	v_fma_f16 v52, v177, s14, v52
	v_fma_f16 v59, v181, s6, v59
	;; [unrolled: 1-line block ×3, first 2 shown]
	v_mul_f16_e32 v62, 0xba79, v62
	v_fma_f16 v176, v175, s12, v74
	v_fma_f16 v180, v179, s13, v178
	;; [unrolled: 1-line block ×7, first 2 shown]
	v_sub_f16_e32 v62, v66, v172
	v_sub_f16_e32 v64, v171, v173
	v_add_f16_e32 v65, v52, v63
	v_add_f16_e32 v66, v59, v60
	v_fma_f16 v176, v77, s7, v176
	v_fma_f16 v180, v78, s7, v180
	v_pack_b32_f16 v65, v65, v66
	v_pack_b32_f16 v62, v62, v64
	ds_write2_b32 v163, v65, v62 offset0:120 offset1:150
	v_sub_f16_e32 v62, v176, v170
	v_sub_f16_e32 v55, v61, v55
	;; [unrolled: 1-line block ×4, first 2 shown]
	v_pack_b32_f16 v56, v62, v61
	v_pack_b32_f16 v51, v55, v51
	v_add_f16_e32 v182, v176, v170
	v_add_f16_e32 v183, v180, v90
	ds_write2_b32 v163, v56, v51 offset0:180 offset1:210
	v_sub_f16_e32 v51, v58, v57
	v_sub_f16_e32 v52, v52, v63
	;; [unrolled: 1-line block ×4, first 2 shown]
	v_pack_b32_f16 v182, v182, v183
	v_pack_b32_f16 v49, v51, v49
	;; [unrolled: 1-line block ×3, first 2 shown]
	v_add_u32_e32 v166, 0x200, v163
	v_lshlrev_b32_e32 v59, 3, v130
	ds_write2_b32 v163, v174, v182 offset1:30
	ds_write2_b32 v166, v49, v50 offset0:112 offset1:142
	s_waitcnt lgkmcnt(0)
	s_barrier
	global_load_dwordx2 v[55:56], v59, s[2:3] offset:1188
	v_lshlrev_b32_e32 v60, 3, v69
	global_load_dwordx2 v[57:58], v60, s[2:3] offset:1188
	global_load_dwordx2 v[51:52], v59, s[2:3] offset:1668
	;; [unrolled: 1-line block ×3, first 2 shown]
	s_movk_i32 s16, 0xffe2
	v_add_co_u32_e32 v61, vcc, s16, v130
	v_addc_co_u32_e64 v62, s[16:17], 0, -1, vcc
	v_cmp_gt_u16_e32 vcc, 30, v130
	v_cndmask_b32_e32 v65, v62, v70, vcc
	v_cndmask_b32_e32 v64, v61, v80, vcc
	v_lshlrev_b64 v[61:62], 3, v[64:65]
	ds_read2_b32 v[65:66], v136 offset0:132 offset1:222
	v_add_co_u32_e32 v69, vcc, s2, v61
	v_addc_co_u32_e32 v70, vcc, v73, v62, vcc
	s_waitcnt lgkmcnt(0)
	v_lshrrev_b32_e32 v61, 16, v65
	ds_read2_b32 v[167:168], v135 offset0:8 offset1:98
	v_lshlrev_b32_e32 v189, 3, v68
	s_movk_i32 s16, 0x384
	s_waitcnt lgkmcnt(0)
	v_lshrrev_b32_e32 v90, 16, v167
	s_waitcnt vmcnt(3)
	v_mul_f16_sdwa v62, v65, v55 dst_sel:DWORD dst_unused:UNUSED_PAD src0_sel:DWORD src1_sel:WORD_1
	v_fma_f16 v82, v61, v55, v62
	v_mul_f16_sdwa v61, v61, v55 dst_sel:DWORD dst_unused:UNUSED_PAD src0_sel:DWORD src1_sel:WORD_1
	v_fma_f16 v84, v65, v55, -v61
	v_lshrrev_b32_e32 v61, 16, v66
	s_waitcnt vmcnt(2)
	v_mul_f16_sdwa v62, v61, v57 dst_sel:DWORD dst_unused:UNUSED_PAD src0_sel:DWORD src1_sel:WORD_1
	v_fma_f16 v86, v66, v57, -v62
	v_mul_f16_sdwa v62, v66, v57 dst_sel:DWORD dst_unused:UNUSED_PAD src0_sel:DWORD src1_sel:WORD_1
	v_fma_f16 v88, v61, v57, v62
	v_mul_f16_sdwa v61, v167, v56 dst_sel:DWORD dst_unused:UNUSED_PAD src0_sel:DWORD src1_sel:WORD_1
	v_fma_f16 v169, v90, v56, v61
	v_lshrrev_b16_e32 v61, 2, v83
	v_mul_u32_u24_e32 v61, 0x6d3b, v61
	v_lshrrev_b32_e32 v61, 21, v61
	v_mul_lo_u16_e32 v62, 0x12c, v61
	v_sub_u16_e32 v62, v83, v62
	v_lshlrev_b16_e32 v63, 3, v62
	v_add_co_u32_e32 v65, vcc, s2, v63
	v_lshrrev_b16_e32 v63, 2, v85
	v_mul_u32_u24_e32 v63, 0x6d3b, v63
	v_lshrrev_b32_e32 v63, 21, v63
	v_mul_lo_u16_e32 v63, 0x12c, v63
	v_sub_u16_e32 v63, v85, v63
	v_addc_co_u32_e32 v66, vcc, 0, v73, vcc
	v_lshlrev_b16_e32 v67, 3, v63
	v_add_co_u32_e32 v74, vcc, s2, v67
	v_addc_co_u32_e32 v75, vcc, 0, v73, vcc
	global_load_dwordx2 v[71:72], v[65:66], off offset:1188
	global_load_dwordx2 v[67:68], v[74:75], off offset:1188
	s_nop 0
	global_load_dwordx2 v[75:76], v[69:70], off offset:1188
	global_load_dwordx2 v[77:78], v189, s[2:3] offset:1188
	v_mul_f16_sdwa v65, v90, v56 dst_sel:DWORD dst_unused:UNUSED_PAD src0_sel:DWORD src1_sel:WORD_1
	v_fma_f16 v74, v167, v56, -v65
	v_lshrrev_b32_e32 v65, 16, v168
	v_mul_f16_sdwa v66, v65, v58 dst_sel:DWORD dst_unused:UNUSED_PAD src0_sel:DWORD src1_sel:WORD_1
	v_fma_f16 v90, v168, v58, -v66
	v_mul_f16_sdwa v66, v168, v58 dst_sel:DWORD dst_unused:UNUSED_PAD src0_sel:DWORD src1_sel:WORD_1
	v_fma_f16 v190, v65, v58, v66
	v_lshrrev_b16_e32 v65, 2, v87
	v_mul_u32_u24_e32 v65, 0x6d3b, v65
	v_lshrrev_b16_e32 v69, 2, v89
	v_lshrrev_b32_e32 v65, 21, v65
	v_mul_u32_u24_e32 v69, 0x6d3b, v69
	v_mul_lo_u16_e32 v65, 0x12c, v65
	v_lshrrev_b32_e32 v69, 21, v69
	v_sub_u16_e32 v191, v87, v65
	v_mul_lo_u16_e32 v69, 0x12c, v69
	v_lshlrev_b16_e32 v65, 3, v191
	v_sub_u16_e32 v192, v89, v69
	ds_read2_b32 v[69:70], v134 offset1:90
	v_add_co_u32_e32 v65, vcc, s2, v65
	v_addc_co_u32_e32 v66, vcc, 0, v73, vcc
	v_lshlrev_b16_e32 v167, 3, v192
	v_add_co_u32_e32 v167, vcc, s2, v167
	v_addc_co_u32_e32 v168, vcc, 0, v73, vcc
	v_add_f16_e32 v73, v84, v74
	s_waitcnt lgkmcnt(0)
	v_fma_f16 v73, v73, -0.5, v69
	v_sub_f16_e32 v170, v82, v169
	v_fma_f16 v171, v170, s0, v73
	v_fma_f16 v193, v170, s1, v73
	v_lshrrev_b32_e32 v73, 16, v69
	v_add_f16_e32 v170, v73, v82
	v_add_f16_e32 v82, v82, v169
	;; [unrolled: 1-line block ×3, first 2 shown]
	v_fma_f16 v73, v82, -0.5, v73
	v_add_f16_e32 v69, v69, v74
	v_sub_f16_e32 v74, v84, v74
	v_add_f16_e32 v170, v170, v169
	v_fma_f16 v82, v74, s1, v73
	v_fma_f16 v84, v74, s0, v73
	v_add_f16_e32 v73, v86, v90
	v_fma_f16 v194, v73, -0.5, v70
	v_lshrrev_b32_e32 v195, 16, v70
	v_add_f16_e32 v196, v70, v86
	v_pack_b32_f16 v197, v69, v170
	global_load_dwordx2 v[73:74], v[65:66], off offset:1188
	global_load_dwordx2 v[69:70], v[167:168], off offset:1188
	v_pack_b32_f16 v82, v171, v82
	ds_read2_b32 v[65:66], v132 offset0:52 offset1:142
	ds_read2_b32 v[167:168], v128 offset0:56 offset1:146
	;; [unrolled: 1-line block ×12, first 2 shown]
	s_waitcnt vmcnt(0) lgkmcnt(0)
	s_barrier
	ds_write_b32 v134, v82 offset:1200
	v_pack_b32_f16 v82, v193, v84
	v_add_f16_e32 v84, v195, v88
	ds_write_b32 v134, v82 offset:2400
	v_add_f16_e32 v82, v196, v90
	v_add_f16_e32 v84, v84, v190
	v_pack_b32_f16 v82, v82, v84
	ds_write2_b32 v134, v197, v82 offset1:90
	v_sub_f16_e32 v82, v88, v190
	v_add_f16_e32 v84, v88, v190
	v_sub_f16_e32 v86, v86, v90
	v_lshrrev_b32_e32 v88, 16, v167
	v_lshrrev_b32_e32 v190, 16, v169
	v_fma_f16 v84, v84, -0.5, v195
	v_lshrrev_b32_e32 v195, 16, v65
	v_cmp_lt_u16_e32 vcc, 29, v130
	v_mad_legacy_u16 v61, v61, s16, v62
	v_lshlrev_b32_e32 v83, 3, v83
	v_lshlrev_b32_e32 v85, 3, v85
	;; [unrolled: 1-line block ×4, first 2 shown]
	v_mul_f16_sdwa v90, v167, v77 dst_sel:DWORD dst_unused:UNUSED_PAD src0_sel:DWORD src1_sel:WORD_1
	v_fma_f16 v90, v88, v77, v90
	v_mul_f16_sdwa v88, v88, v77 dst_sel:DWORD dst_unused:UNUSED_PAD src0_sel:DWORD src1_sel:WORD_1
	v_mul_f16_sdwa v193, v169, v78 dst_sel:DWORD dst_unused:UNUSED_PAD src0_sel:DWORD src1_sel:WORD_1
	v_fma_f16 v88, v167, v77, -v88
	v_mul_f16_sdwa v167, v190, v78 dst_sel:DWORD dst_unused:UNUSED_PAD src0_sel:DWORD src1_sel:WORD_1
	v_fma_f16 v193, v190, v78, v193
	v_add_f16_e32 v196, v195, v90
	v_fma_f16 v167, v169, v78, -v167
	v_add_f16_e32 v169, v65, v88
	v_add_f16_e32 v196, v196, v193
	v_sub_f16_e32 v197, v90, v193
	v_add_f16_e32 v90, v90, v193
	v_add_f16_e32 v169, v169, v167
	v_add_f16_e32 v190, v88, v167
	v_fma_f16 v90, v90, -0.5, v195
	v_sub_f16_e32 v88, v88, v167
	v_pack_b32_f16 v169, v169, v196
	v_fma_f16 v65, v190, -0.5, v65
	v_fma_f16 v167, v82, s0, v194
	v_fma_f16 v193, v86, s1, v84
	ds_write_b32 v134, v169 offset:720
	v_fma_f16 v169, v197, s0, v65
	v_fma_f16 v82, v82, s1, v194
	;; [unrolled: 1-line block ×5, first 2 shown]
	v_pack_b32_f16 v82, v82, v84
	v_pack_b32_f16 v65, v65, v86
	v_fma_f16 v190, v88, s1, v90
	ds_write2_b32 v100, v82, v65 offset0:50 offset1:140
	v_mov_b32_e32 v65, 0x384
	v_pack_b32_f16 v167, v167, v193
	v_pack_b32_f16 v169, v169, v190
	v_cndmask_b32_e32 v65, 0, v65, vcc
	ds_write2_b32 v118, v167, v169 offset0:134 offset1:224
	v_add_lshl_u32 v167, v64, v65, 2
	v_lshrrev_b32_e32 v64, 16, v168
	v_mul_f16_sdwa v82, v168, v75 dst_sel:DWORD dst_unused:UNUSED_PAD src0_sel:DWORD src1_sel:WORD_1
	v_mul_f16_sdwa v65, v64, v75 dst_sel:DWORD dst_unused:UNUSED_PAD src0_sel:DWORD src1_sel:WORD_1
	v_fma_f16 v64, v64, v75, v82
	v_lshrrev_b32_e32 v82, 16, v170
	v_mul_f16_sdwa v84, v82, v76 dst_sel:DWORD dst_unused:UNUSED_PAD src0_sel:DWORD src1_sel:WORD_1
	v_mul_f16_sdwa v86, v170, v76 dst_sel:DWORD dst_unused:UNUSED_PAD src0_sel:DWORD src1_sel:WORD_1
	v_lshrrev_b32_e32 v90, 16, v174
	v_mul_f16_sdwa v169, v174, v49 dst_sel:DWORD dst_unused:UNUSED_PAD src0_sel:DWORD src1_sel:WORD_1
	v_fma_f16 v65, v168, v75, -v65
	v_fma_f16 v84, v170, v76, -v84
	v_fma_f16 v82, v82, v76, v86
	v_lshrrev_b32_e32 v86, 16, v173
	v_mul_f16_sdwa v88, v173, v51 dst_sel:DWORD dst_unused:UNUSED_PAD src0_sel:DWORD src1_sel:WORD_1
	v_mul_f16_sdwa v168, v90, v49 dst_sel:DWORD dst_unused:UNUSED_PAD src0_sel:DWORD src1_sel:WORD_1
	v_fma_f16 v90, v90, v49, v169
	v_lshrrev_b32_e32 v169, 16, v175
	v_mul_f16_sdwa v170, v175, v52 dst_sel:DWORD dst_unused:UNUSED_PAD src0_sel:DWORD src1_sel:WORD_1
	v_fma_f16 v88, v86, v51, v88
	v_mul_f16_sdwa v86, v86, v51 dst_sel:DWORD dst_unused:UNUSED_PAD src0_sel:DWORD src1_sel:WORD_1
	v_fma_f16 v170, v169, v52, v170
	v_mul_f16_sdwa v169, v169, v52 dst_sel:DWORD dst_unused:UNUSED_PAD src0_sel:DWORD src1_sel:WORD_1
	v_fma_f16 v86, v173, v51, -v86
	v_fma_f16 v169, v175, v52, -v169
	v_lshrrev_b32_e32 v173, 16, v176
	v_mul_f16_sdwa v175, v176, v50 dst_sel:DWORD dst_unused:UNUSED_PAD src0_sel:DWORD src1_sel:WORD_1
	v_fma_f16 v168, v174, v49, -v168
	v_mul_f16_sdwa v174, v173, v50 dst_sel:DWORD dst_unused:UNUSED_PAD src0_sel:DWORD src1_sel:WORD_1
	v_fma_f16 v173, v173, v50, v175
	v_add_f16_e32 v175, v65, v84
	v_fma_f16 v174, v176, v50, -v174
	v_fma_f16 v175, v175, -0.5, v66
	v_lshrrev_b32_e32 v176, 16, v66
	v_sub_f16_e32 v190, v64, v82
	v_add_f16_e32 v66, v66, v65
	v_fma_f16 v193, v190, s0, v175
	v_fma_f16 v175, v190, s1, v175
	v_add_f16_e32 v190, v176, v64
	v_add_f16_e32 v64, v64, v82
	;; [unrolled: 1-line block ×3, first 2 shown]
	v_fma_f16 v64, v64, -0.5, v176
	v_add_f16_e32 v66, v66, v84
	v_sub_f16_e32 v65, v65, v84
	v_fma_f16 v82, v65, s1, v64
	v_pack_b32_f16 v66, v66, v190
	v_fma_f16 v64, v65, s0, v64
	v_add_f16_e32 v65, v86, v169
	v_lshrrev_b32_e32 v176, 16, v171
	ds_write_b32 v167, v66
	v_pack_b32_f16 v66, v193, v82
	v_fma_f16 v65, v65, -0.5, v171
	v_add_f16_e32 v84, v168, v174
	v_lshrrev_b32_e32 v194, 16, v172
	v_add_f16_e32 v171, v171, v86
	ds_write_b32 v167, v66 offset:1200
	v_pack_b32_f16 v64, v175, v64
	v_add_f16_e32 v66, v176, v88
	v_fma_f16 v84, v84, -0.5, v172
	v_add_f16_e32 v172, v172, v168
	ds_write_b32 v167, v64 offset:2400
	v_add_f16_e32 v64, v171, v169
	v_add_f16_e32 v66, v66, v170
	;; [unrolled: 1-line block ×3, first 2 shown]
	v_pack_b32_f16 v64, v64, v66
	v_add_f16_e32 v66, v172, v174
	v_add_f16_e32 v82, v82, v173
	v_pack_b32_f16 v66, v66, v82
	ds_write2_b32 v137, v64, v66 offset0:64 offset1:154
	v_sub_f16_e32 v64, v88, v170
	v_add_f16_e32 v66, v88, v170
	v_add_f16_e32 v88, v90, v173
	v_fma_f16 v66, v66, -0.5, v176
	v_sub_f16_e32 v82, v86, v169
	v_sub_f16_e32 v86, v90, v173
	v_fma_f16 v88, v88, -0.5, v194
	v_sub_f16_e32 v90, v168, v174
	v_fma_f16 v168, v64, s0, v65
	v_fma_f16 v169, v82, s1, v66
	;; [unrolled: 1-line block ×6, first 2 shown]
	v_pack_b32_f16 v168, v168, v169
	v_fma_f16 v169, v86, s0, v84
	v_pack_b32_f16 v64, v64, v65
	v_pack_b32_f16 v65, v66, v82
	v_lshrrev_b32_e32 v66, 16, v180
	v_mul_f16_sdwa v84, v180, v67 dst_sel:DWORD dst_unused:UNUSED_PAD src0_sel:DWORD src1_sel:WORD_1
	ds_write2_b32 v102, v64, v65 offset0:24 offset1:114
	v_lshrrev_b32_e32 v64, 16, v179
	v_mul_f16_sdwa v65, v179, v71 dst_sel:DWORD dst_unused:UNUSED_PAD src0_sel:DWORD src1_sel:WORD_1
	v_mul_f16_sdwa v82, v66, v67 dst_sel:DWORD dst_unused:UNUSED_PAD src0_sel:DWORD src1_sel:WORD_1
	v_fma_f16 v66, v66, v67, v84
	v_lshrrev_b32_e32 v84, 16, v181
	v_mul_f16_sdwa v86, v181, v72 dst_sel:DWORD dst_unused:UNUSED_PAD src0_sel:DWORD src1_sel:WORD_1
	v_fma_f16 v65, v64, v71, v65
	v_mul_f16_sdwa v64, v64, v71 dst_sel:DWORD dst_unused:UNUSED_PAD src0_sel:DWORD src1_sel:WORD_1
	v_fma_f16 v86, v84, v72, v86
	v_mul_f16_sdwa v84, v84, v72 dst_sel:DWORD dst_unused:UNUSED_PAD src0_sel:DWORD src1_sel:WORD_1
	v_fma_f16 v64, v179, v71, -v64
	v_fma_f16 v84, v181, v72, -v84
	v_lshrrev_b32_e32 v174, 16, v188
	v_mul_f16_sdwa v176, v188, v70 dst_sel:DWORD dst_unused:UNUSED_PAD src0_sel:DWORD src1_sel:WORD_1
	v_mul_f16_sdwa v175, v174, v70 dst_sel:DWORD dst_unused:UNUSED_PAD src0_sel:DWORD src1_sel:WORD_1
	v_fma_f16 v174, v174, v70, v176
	v_add_f16_e32 v176, v64, v84
	v_fma_f16 v176, v176, -0.5, v177
	v_sub_f16_e32 v179, v65, v86
	v_fma_f16 v170, v90, s1, v88
	v_fma_f16 v82, v180, v67, -v82
	v_lshrrev_b32_e32 v88, 16, v182
	v_fma_f16 v180, v179, s0, v176
	v_fma_f16 v176, v179, s1, v176
	v_lshrrev_b32_e32 v179, 16, v177
	v_pack_b32_f16 v169, v169, v170
	v_mul_f16_sdwa v90, v88, v68 dst_sel:DWORD dst_unused:UNUSED_PAD src0_sel:DWORD src1_sel:WORD_1
	v_add_f16_e32 v181, v179, v65
	v_add_f16_e32 v65, v65, v86
	ds_write2_b32 v121, v168, v169 offset0:108 offset1:198
	v_fma_f16 v90, v182, v68, -v90
	v_mul_f16_sdwa v168, v182, v68 dst_sel:DWORD dst_unused:UNUSED_PAD src0_sel:DWORD src1_sel:WORD_1
	v_add_f16_e32 v181, v181, v86
	v_fma_f16 v65, v65, -0.5, v179
	v_add_f16_e32 v86, v177, v64
	v_sub_f16_e32 v64, v64, v84
	v_fma_f16 v88, v88, v68, v168
	v_lshrrev_b32_e32 v170, 16, v186
	v_mul_f16_sdwa v172, v186, v69 dst_sel:DWORD dst_unused:UNUSED_PAD src0_sel:DWORD src1_sel:WORD_1
	v_add_f16_e32 v86, v86, v84
	v_fma_f16 v84, v64, s1, v65
	v_fma_f16 v64, v64, s0, v65
	v_add_f16_e32 v65, v82, v90
	v_lshrrev_b32_e32 v168, 16, v185
	v_mul_f16_sdwa v169, v185, v73 dst_sel:DWORD dst_unused:UNUSED_PAD src0_sel:DWORD src1_sel:WORD_1
	v_mul_f16_sdwa v171, v170, v69 dst_sel:DWORD dst_unused:UNUSED_PAD src0_sel:DWORD src1_sel:WORD_1
	v_fma_f16 v170, v170, v69, v172
	v_lshrrev_b32_e32 v172, 16, v187
	v_mul_f16_sdwa v173, v187, v74 dst_sel:DWORD dst_unused:UNUSED_PAD src0_sel:DWORD src1_sel:WORD_1
	v_fma_f16 v65, v65, -0.5, v178
	v_lshrrev_b32_e32 v177, 16, v178
	v_sub_f16_e32 v179, v66, v88
	v_fma_f16 v169, v168, v73, v169
	v_mul_f16_sdwa v168, v168, v73 dst_sel:DWORD dst_unused:UNUSED_PAD src0_sel:DWORD src1_sel:WORD_1
	v_fma_f16 v173, v172, v74, v173
	v_mul_f16_sdwa v172, v172, v74 dst_sel:DWORD dst_unused:UNUSED_PAD src0_sel:DWORD src1_sel:WORD_1
	v_fma_f16 v182, v179, s0, v65
	v_fma_f16 v65, v179, s1, v65
	v_add_f16_e32 v179, v177, v66
	v_add_f16_e32 v66, v66, v88
	v_fma_f16 v168, v185, v73, -v168
	v_fma_f16 v172, v187, v74, -v172
	v_add_f16_e32 v178, v178, v82
	v_fma_f16 v66, v66, -0.5, v177
	v_sub_f16_e32 v82, v82, v90
	v_add_f16_e32 v179, v179, v88
	v_add_f16_e32 v88, v178, v90
	v_fma_f16 v90, v82, s1, v66
	v_fma_f16 v66, v82, s0, v66
	v_add_f16_e32 v82, v168, v172
	v_fma_f16 v82, v82, -0.5, v183
	v_sub_f16_e32 v177, v169, v173
	v_fma_f16 v178, v177, s0, v82
	v_fma_f16 v82, v177, s1, v82
	v_lshrrev_b32_e32 v177, 16, v183
	v_add_f16_e32 v185, v177, v169
	v_add_f16_e32 v169, v169, v173
	v_fma_f16 v171, v186, v69, -v171
	v_fma_f16 v175, v188, v70, -v175
	v_add_f16_e32 v185, v185, v173
	v_fma_f16 v169, v169, -0.5, v177
	v_add_f16_e32 v173, v183, v168
	v_sub_f16_e32 v168, v168, v172
	v_add_f16_e32 v173, v173, v172
	v_fma_f16 v172, v168, s1, v169
	v_fma_f16 v169, v168, s0, v169
	v_add_f16_e32 v168, v171, v175
	v_fma_f16 v168, v168, -0.5, v184
	v_lshrrev_b32_e32 v177, 16, v184
	v_add_f16_e32 v183, v184, v171
	v_sub_f16_e32 v184, v170, v174
	v_fma_f16 v186, v184, s0, v168
	v_fma_f16 v184, v184, s1, v168
	v_add_f16_e32 v168, v177, v170
	v_add_f16_e32 v187, v168, v174
	;; [unrolled: 1-line block ×3, first 2 shown]
	v_sub_f16_e32 v170, v171, v175
	v_lshlrev_b32_e32 v171, 2, v61
	v_pack_b32_f16 v61, v180, v84
	v_fma_f16 v168, v168, -0.5, v177
	ds_write_b32 v171, v61 offset:1200
	v_pack_b32_f16 v61, v176, v64
	v_add_f16_e32 v174, v183, v175
	v_fma_f16 v175, v170, s1, v168
	v_fma_f16 v177, v170, s0, v168
	v_pack_b32_f16 v62, v86, v181
	ds_write_b32 v171, v61 offset:2400
	v_pack_b32_f16 v61, v88, v179
	v_lshlrev_b32_e32 v170, 2, v63
	ds_write_b32 v171, v62
	ds_write_b32 v170, v61 offset:7200
	v_pack_b32_f16 v61, v182, v90
	ds_write_b32 v170, v61 offset:8400
	v_pack_b32_f16 v61, v65, v66
	;; [unrolled: 2-line block ×3, first 2 shown]
	v_lshlrev_b32_e32 v168, 2, v191
	ds_write_b32 v168, v61 offset:7200
	v_pack_b32_f16 v61, v178, v172
	ds_write_b32 v168, v61 offset:8400
	v_pack_b32_f16 v61, v82, v169
	;; [unrolled: 2-line block ×3, first 2 shown]
	v_lshlrev_b32_e32 v169, 2, v192
	ds_write_b32 v169, v61 offset:7200
	v_pack_b32_f16 v61, v186, v175
	ds_write_b32 v169, v61 offset:8400
	v_pack_b32_f16 v61, v184, v177
	ds_write_b32 v169, v61 offset:9600
	s_waitcnt lgkmcnt(0)
	s_barrier
	global_load_dwordx2 v[65:66], v59, s[2:3] offset:3588
	global_load_dwordx2 v[63:64], v60, s[2:3] offset:3588
	;; [unrolled: 1-line block ×3, first 2 shown]
	v_lshlrev_b32_e32 v59, 3, v80
	global_load_dwordx2 v[59:60], v59, s[2:3] offset:3588
	ds_read2_b32 v[172:173], v136 offset0:132 offset1:222
	ds_read2_b32 v[174:175], v135 offset0:8 offset1:98
	s_waitcnt lgkmcnt(1)
	v_lshrrev_b32_e32 v80, 16, v172
	v_lshrrev_b32_e32 v84, 16, v173
	s_waitcnt vmcnt(3)
	v_mul_f16_sdwa v82, v172, v65 dst_sel:DWORD dst_unused:UNUSED_PAD src0_sel:DWORD src1_sel:WORD_1
	s_waitcnt vmcnt(2)
	v_mul_f16_sdwa v88, v173, v63 dst_sel:DWORD dst_unused:UNUSED_PAD src0_sel:DWORD src1_sel:WORD_1
	v_fma_f16 v82, v80, v65, v82
	v_mul_f16_sdwa v80, v80, v65 dst_sel:DWORD dst_unused:UNUSED_PAD src0_sel:DWORD src1_sel:WORD_1
	v_mul_f16_sdwa v86, v84, v63 dst_sel:DWORD dst_unused:UNUSED_PAD src0_sel:DWORD src1_sel:WORD_1
	v_fma_f16 v84, v84, v63, v88
	s_waitcnt lgkmcnt(0)
	v_lshrrev_b32_e32 v88, 16, v174
	v_mul_f16_sdwa v90, v174, v66 dst_sel:DWORD dst_unused:UNUSED_PAD src0_sel:DWORD src1_sel:WORD_1
	v_fma_f16 v80, v172, v65, -v80
	v_fma_f16 v86, v173, v63, -v86
	v_fma_f16 v90, v88, v66, v90
	v_mul_f16_sdwa v88, v88, v66 dst_sel:DWORD dst_unused:UNUSED_PAD src0_sel:DWORD src1_sel:WORD_1
	ds_read2_b32 v[172:173], v134 offset1:90
	v_fma_f16 v88, v174, v66, -v88
	v_lshrrev_b32_e32 v174, 16, v175
	v_mul_f16_sdwa v176, v174, v64 dst_sel:DWORD dst_unused:UNUSED_PAD src0_sel:DWORD src1_sel:WORD_1
	v_fma_f16 v196, v175, v64, -v176
	v_mul_f16_sdwa v175, v175, v64 dst_sel:DWORD dst_unused:UNUSED_PAD src0_sel:DWORD src1_sel:WORD_1
	v_fma_f16 v197, v174, v64, v175
	v_add_f16_e32 v174, v80, v88
	s_waitcnt lgkmcnt(0)
	v_fma_f16 v174, v174, -0.5, v172
	v_sub_f16_e32 v175, v82, v90
	v_fma_f16 v176, v175, s0, v174
	v_fma_f16 v174, v175, s1, v174
	v_lshrrev_b32_e32 v175, 16, v172
	v_add_f16_e32 v177, v175, v82
	v_add_f16_e32 v82, v82, v90
	v_add_f16_e32 v177, v177, v90
	v_fma_f16 v82, v82, -0.5, v175
	v_add_f16_e32 v90, v172, v80
	v_sub_f16_e32 v80, v80, v88
	v_add_f16_e32 v90, v90, v88
	v_fma_f16 v88, v80, s1, v82
	v_fma_f16 v80, v80, s0, v82
	v_add_f16_e32 v82, v86, v196
	v_fma_f16 v198, v82, -0.5, v173
	v_lshrrev_b32_e32 v82, 16, v173
	v_pack_b32_f16 v88, v176, v88
	v_add_f16_e32 v172, v173, v86
	ds_write_b32 v134, v88 offset:3600
	v_pack_b32_f16 v80, v174, v80
	v_add_f16_e32 v88, v82, v84
	ds_write_b32 v134, v80 offset:7200
	v_add_f16_e32 v80, v172, v196
	v_add_f16_e32 v88, v88, v197
	v_pack_b32_f16 v90, v90, v177
	v_pack_b32_f16 v88, v80, v88
	ds_read2_b32 v[172:173], v132 offset0:52 offset1:142
	ds_read2_b32 v[174:175], v128 offset0:56 offset1:146
	;; [unrolled: 1-line block ×7, first 2 shown]
	global_load_dwordx2 v[79:80], v79, s[2:3] offset:3588
	ds_read2_b32 v[186:187], v108 offset0:160 offset1:250
	ds_read2_b32 v[188:189], v106 offset0:36 offset1:126
	;; [unrolled: 1-line block ×5, first 2 shown]
	ds_write2_b32 v134, v90, v88 offset1:90
	v_sub_f16_e32 v88, v84, v197
	v_add_f16_e32 v84, v84, v197
	v_fma_f16 v84, v84, -0.5, v82
	v_sub_f16_e32 v86, v86, v196
	v_fma_f16 v82, v88, s0, v198
	v_fma_f16 v90, v86, s1, v84
	v_pack_b32_f16 v90, v82, v90
	s_waitcnt lgkmcnt(11)
	v_lshrrev_b32_e32 v82, 16, v174
	s_waitcnt vmcnt(2)
	v_mul_f16_sdwa v196, v174, v61 dst_sel:DWORD dst_unused:UNUSED_PAD src0_sel:DWORD src1_sel:WORD_1
	v_fma_f16 v196, v82, v61, v196
	v_mul_f16_sdwa v82, v82, v61 dst_sel:DWORD dst_unused:UNUSED_PAD src0_sel:DWORD src1_sel:WORD_1
	v_fma_f16 v174, v174, v61, -v82
	s_waitcnt lgkmcnt(10)
	v_lshrrev_b32_e32 v82, 16, v176
	v_mul_f16_sdwa v197, v176, v62 dst_sel:DWORD dst_unused:UNUSED_PAD src0_sel:DWORD src1_sel:WORD_1
	v_fma_f16 v197, v82, v62, v197
	v_mul_f16_sdwa v82, v82, v62 dst_sel:DWORD dst_unused:UNUSED_PAD src0_sel:DWORD src1_sel:WORD_1
	v_fma_f16 v176, v176, v62, -v82
	v_add_f16_e32 v82, v174, v176
	v_fma_f16 v199, v82, -0.5, v172
	v_lshrrev_b32_e32 v200, 16, v172
	global_load_dwordx2 v[81:82], v81, s[2:3] offset:3588
	v_add_f16_e32 v201, v196, v197
	v_fma_f16 v201, v201, -0.5, v200
	v_sub_f16_e32 v202, v196, v197
	v_sub_f16_e32 v204, v174, v176
	v_fma_f16 v203, v202, s0, v199
	v_fma_f16 v205, v204, s1, v201
	v_pack_b32_f16 v203, v203, v205
	ds_write2_b32 v137, v90, v203 offset0:94 offset1:184
	v_fma_f16 v88, v88, s1, v198
	v_fma_f16 v84, v86, s0, v84
	;; [unrolled: 1-line block ×4, first 2 shown]
	v_pack_b32_f16 v84, v88, v84
	v_pack_b32_f16 v86, v86, v90
	ds_write2_b32 v135, v84, v86 offset0:98 offset1:188
	v_lshrrev_b32_e32 v84, 16, v175
	s_waitcnt vmcnt(2)
	v_mul_f16_sdwa v86, v84, v59 dst_sel:DWORD dst_unused:UNUSED_PAD src0_sel:DWORD src1_sel:WORD_1
	v_mul_f16_sdwa v88, v175, v59 dst_sel:DWORD dst_unused:UNUSED_PAD src0_sel:DWORD src1_sel:WORD_1
	v_fma_f16 v86, v175, v59, -v86
	v_fma_f16 v88, v84, v59, v88
	v_lshrrev_b32_e32 v84, 16, v177
	v_mul_f16_sdwa v175, v177, v60 dst_sel:DWORD dst_unused:UNUSED_PAD src0_sel:DWORD src1_sel:WORD_1
	v_mul_f16_sdwa v90, v84, v60 dst_sel:DWORD dst_unused:UNUSED_PAD src0_sel:DWORD src1_sel:WORD_1
	v_fma_f16 v175, v84, v60, v175
	v_add_f16_e32 v84, v172, v174
	v_fma_f16 v90, v177, v60, -v90
	v_add_f16_e32 v172, v84, v176
	v_add_f16_e32 v84, v200, v196
	;; [unrolled: 1-line block ×4, first 2 shown]
	v_fma_f16 v176, v84, -0.5, v173
	global_load_dwordx2 v[83:84], v83, s[2:3] offset:3588
	v_lshrrev_b32_e32 v177, 16, v173
	v_add_f16_e32 v173, v173, v86
	v_pack_b32_f16 v172, v172, v174
	v_add_f16_e32 v174, v177, v88
	v_add_f16_e32 v173, v173, v90
	;; [unrolled: 1-line block ×3, first 2 shown]
	v_pack_b32_f16 v173, v173, v174
	ds_write2_b32 v132, v172, v173 offset0:52 offset1:142
	v_sub_f16_e32 v172, v88, v175
	v_add_f16_e32 v88, v88, v175
	s_waitcnt lgkmcnt(11)
	v_lshrrev_b32_e32 v174, 16, v180
	v_fma_f16 v88, v88, -0.5, v177
	s_waitcnt lgkmcnt(10)
	v_lshrrev_b32_e32 v177, 16, v182
	v_sub_f16_e32 v90, v86, v90
	v_lshrrev_b32_e32 v196, 16, v178
	v_fma_f16 v86, v172, s0, v176
	v_fma_f16 v173, v90, s1, v88
	v_pack_b32_f16 v173, v86, v173
	global_load_dwordx2 v[85:86], v85, s[2:3] offset:3588
	v_fma_f16 v172, v172, s1, v176
	v_fma_f16 v88, v90, s0, v88
	v_pack_b32_f16 v88, v172, v88
	s_waitcnt vmcnt(3)
	v_mul_f16_sdwa v175, v180, v79 dst_sel:DWORD dst_unused:UNUSED_PAD src0_sel:DWORD src1_sel:WORD_1
	v_fma_f16 v175, v174, v79, v175
	v_mul_f16_sdwa v174, v174, v79 dst_sel:DWORD dst_unused:UNUSED_PAD src0_sel:DWORD src1_sel:WORD_1
	v_fma_f16 v174, v180, v79, -v174
	v_mul_f16_sdwa v180, v182, v80 dst_sel:DWORD dst_unused:UNUSED_PAD src0_sel:DWORD src1_sel:WORD_1
	v_fma_f16 v180, v177, v80, v180
	v_mul_f16_sdwa v177, v177, v80 dst_sel:DWORD dst_unused:UNUSED_PAD src0_sel:DWORD src1_sel:WORD_1
	v_fma_f16 v177, v182, v80, -v177
	v_add_f16_e32 v182, v174, v177
	v_add_f16_e32 v197, v175, v180
	v_fma_f16 v182, v182, -0.5, v178
	v_fma_f16 v197, v197, -0.5, v196
	v_sub_f16_e32 v198, v175, v180
	v_sub_f16_e32 v200, v174, v177
	v_fma_f16 v199, v198, s0, v182
	v_fma_f16 v201, v200, s1, v197
	v_pack_b32_f16 v199, v199, v201
	ds_write2_b32 v128, v173, v199 offset0:146 offset1:236
	v_fma_f16 v90, v198, s1, v182
	v_fma_f16 v173, v200, s0, v197
	v_pack_b32_f16 v90, v90, v173
	ds_write2_b32 v115, v88, v90 offset0:22 offset1:112
	v_lshrrev_b32_e32 v88, 16, v181
	s_waitcnt vmcnt(2)
	v_mul_f16_sdwa v172, v181, v81 dst_sel:DWORD dst_unused:UNUSED_PAD src0_sel:DWORD src1_sel:WORD_1
	v_mul_f16_sdwa v90, v88, v81 dst_sel:DWORD dst_unused:UNUSED_PAD src0_sel:DWORD src1_sel:WORD_1
	v_fma_f16 v172, v88, v81, v172
	v_lshrrev_b32_e32 v88, 16, v183
	v_mul_f16_sdwa v173, v88, v82 dst_sel:DWORD dst_unused:UNUSED_PAD src0_sel:DWORD src1_sel:WORD_1
	v_mul_f16_sdwa v176, v183, v82 dst_sel:DWORD dst_unused:UNUSED_PAD src0_sel:DWORD src1_sel:WORD_1
	v_fma_f16 v90, v181, v81, -v90
	v_fma_f16 v173, v183, v82, -v173
	v_fma_f16 v176, v88, v82, v176
	v_add_f16_e32 v88, v178, v174
	v_add_f16_e32 v174, v88, v177
	;; [unrolled: 1-line block ×5, first 2 shown]
	v_fma_f16 v177, v177, -0.5, v179
	v_lshrrev_b32_e32 v178, 16, v179
	v_add_f16_e32 v179, v179, v90
	global_load_dwordx2 v[87:88], v87, s[2:3] offset:3588
	v_pack_b32_f16 v174, v174, v175
	v_add_f16_e32 v175, v179, v173
	v_add_f16_e32 v179, v178, v172
	;; [unrolled: 1-line block ×3, first 2 shown]
	v_pack_b32_f16 v175, v175, v179
	ds_write2_b32 v118, v174, v175 offset0:104 offset1:194
	v_sub_f16_e32 v174, v172, v176
	v_add_f16_e32 v172, v172, v176
	v_fma_f16 v172, v172, -0.5, v178
	v_sub_f16_e32 v173, v90, v173
	v_fma_f16 v90, v174, s0, v177
	v_fma_f16 v175, v173, s1, v172
	v_pack_b32_f16 v175, v90, v175
	s_waitcnt lgkmcnt(11)
	v_lshrrev_b32_e32 v90, 16, v186
	s_waitcnt vmcnt(2)
	v_mul_f16_sdwa v176, v186, v83 dst_sel:DWORD dst_unused:UNUSED_PAD src0_sel:DWORD src1_sel:WORD_1
	v_fma_f16 v176, v90, v83, v176
	v_mul_f16_sdwa v90, v90, v83 dst_sel:DWORD dst_unused:UNUSED_PAD src0_sel:DWORD src1_sel:WORD_1
	v_fma_f16 v178, v186, v83, -v90
	s_waitcnt lgkmcnt(10)
	v_lshrrev_b32_e32 v90, 16, v188
	v_mul_f16_sdwa v179, v188, v84 dst_sel:DWORD dst_unused:UNUSED_PAD src0_sel:DWORD src1_sel:WORD_1
	v_fma_f16 v179, v90, v84, v179
	v_mul_f16_sdwa v180, v90, v84 dst_sel:DWORD dst_unused:UNUSED_PAD src0_sel:DWORD src1_sel:WORD_1
	global_load_dwordx2 v[89:90], v89, s[2:3] offset:3588
	v_fma_f16 v180, v188, v84, -v180
	v_add_f16_e32 v181, v178, v180
	v_lshrrev_b32_e32 v182, 16, v184
	v_add_f16_e32 v183, v176, v179
	v_fma_f16 v181, v181, -0.5, v184
	v_fma_f16 v183, v183, -0.5, v182
	v_sub_f16_e32 v186, v176, v179
	v_sub_f16_e32 v196, v178, v180
	v_fma_f16 v188, v186, s0, v181
	v_fma_f16 v197, v196, s1, v183
	v_pack_b32_f16 v188, v188, v197
	ds_write2_b32 v108, v175, v188 offset0:70 offset1:160
	v_fma_f16 v174, v174, s1, v177
	v_fma_f16 v172, v173, s0, v172
	;; [unrolled: 1-line block ×4, first 2 shown]
	v_pack_b32_f16 v172, v174, v172
	v_pack_b32_f16 v173, v173, v175
	ds_write2_b32 v138, v172, v173 offset0:74 offset1:164
	v_lshrrev_b32_e32 v172, 16, v187
	s_waitcnt vmcnt(2)
	v_mul_f16_sdwa v174, v187, v85 dst_sel:DWORD dst_unused:UNUSED_PAD src0_sel:DWORD src1_sel:WORD_1
	v_mul_f16_sdwa v173, v172, v85 dst_sel:DWORD dst_unused:UNUSED_PAD src0_sel:DWORD src1_sel:WORD_1
	v_fma_f16 v172, v172, v85, v174
	v_lshrrev_b32_e32 v174, 16, v189
	v_mul_f16_sdwa v177, v189, v86 dst_sel:DWORD dst_unused:UNUSED_PAD src0_sel:DWORD src1_sel:WORD_1
	v_fma_f16 v173, v187, v85, -v173
	v_mul_f16_sdwa v175, v174, v86 dst_sel:DWORD dst_unused:UNUSED_PAD src0_sel:DWORD src1_sel:WORD_1
	v_fma_f16 v174, v174, v86, v177
	v_add_f16_e32 v177, v184, v178
	v_add_f16_e32 v176, v182, v176
	v_fma_f16 v175, v189, v86, -v175
	v_add_f16_e32 v177, v177, v180
	v_add_f16_e32 v176, v176, v179
	v_lshrrev_b32_e32 v179, 16, v185
	v_add_f16_e32 v180, v185, v173
	v_pack_b32_f16 v176, v177, v176
	v_add_f16_e32 v177, v180, v175
	v_add_f16_e32 v180, v179, v172
	v_add_f16_e32 v180, v180, v174
	v_pack_b32_f16 v177, v177, v180
	v_add_f16_e32 v178, v173, v175
	ds_write2_b32 v111, v176, v177 offset0:28 offset1:118
	v_sub_f16_e32 v176, v172, v174
	v_add_f16_e32 v172, v172, v174
	v_fma_f16 v178, v178, -0.5, v185
	v_fma_f16 v172, v172, -0.5, v179
	v_sub_f16_e32 v173, v173, v175
	v_fma_f16 v174, v176, s0, v178
	v_fma_f16 v175, v173, s1, v172
	v_pack_b32_f16 v174, v174, v175
	s_waitcnt lgkmcnt(11)
	v_lshrrev_b32_e32 v175, 16, v192
	s_waitcnt lgkmcnt(10)
	v_lshrrev_b32_e32 v179, 16, v194
	v_lshrrev_b32_e32 v182, 16, v190
	v_fma_f16 v172, v173, s0, v172
	s_movk_i32 s2, 0x2a30
	s_mov_b32 s3, 0xba79
	s_waitcnt vmcnt(1)
	v_mul_f16_sdwa v177, v192, v87 dst_sel:DWORD dst_unused:UNUSED_PAD src0_sel:DWORD src1_sel:WORD_1
	v_mul_f16_sdwa v180, v194, v88 dst_sel:DWORD dst_unused:UNUSED_PAD src0_sel:DWORD src1_sel:WORD_1
	v_fma_f16 v177, v175, v87, v177
	v_mul_f16_sdwa v175, v175, v87 dst_sel:DWORD dst_unused:UNUSED_PAD src0_sel:DWORD src1_sel:WORD_1
	v_fma_f16 v180, v179, v88, v180
	v_mul_f16_sdwa v179, v179, v88 dst_sel:DWORD dst_unused:UNUSED_PAD src0_sel:DWORD src1_sel:WORD_1
	v_fma_f16 v175, v192, v87, -v175
	v_fma_f16 v179, v194, v88, -v179
	v_add_f16_e32 v181, v175, v179
	v_add_f16_e32 v183, v177, v180
	v_fma_f16 v181, v181, -0.5, v190
	v_fma_f16 v183, v183, -0.5, v182
	v_sub_f16_e32 v184, v177, v180
	v_sub_f16_e32 v186, v175, v179
	v_fma_f16 v185, v184, s0, v181
	v_fma_f16 v187, v186, s1, v183
	v_pack_b32_f16 v185, v185, v187
	ds_write2_b32 v139, v174, v185 offset0:122 offset1:212
	v_fma_f16 v174, v176, s1, v178
	v_fma_f16 v173, v184, s1, v181
	;; [unrolled: 1-line block ×3, first 2 shown]
	v_pack_b32_f16 v172, v174, v172
	v_pack_b32_f16 v173, v173, v176
	ds_write2_b32 v106, v172, v173 offset0:126 offset1:216
	v_lshrrev_b32_e32 v172, 16, v193
	s_waitcnt vmcnt(0)
	v_mul_f16_sdwa v174, v193, v89 dst_sel:DWORD dst_unused:UNUSED_PAD src0_sel:DWORD src1_sel:WORD_1
	v_mul_f16_sdwa v173, v172, v89 dst_sel:DWORD dst_unused:UNUSED_PAD src0_sel:DWORD src1_sel:WORD_1
	v_fma_f16 v172, v172, v89, v174
	v_lshrrev_b32_e32 v174, 16, v195
	v_fma_f16 v173, v193, v89, -v173
	v_mul_f16_sdwa v176, v174, v90 dst_sel:DWORD dst_unused:UNUSED_PAD src0_sel:DWORD src1_sel:WORD_1
	v_add_f16_e32 v175, v190, v175
	v_add_f16_e32 v177, v182, v177
	v_fma_f16 v176, v195, v90, -v176
	v_mul_f16_sdwa v178, v195, v90 dst_sel:DWORD dst_unused:UNUSED_PAD src0_sel:DWORD src1_sel:WORD_1
	v_add_f16_e32 v175, v175, v179
	v_add_f16_e32 v177, v177, v180
	v_lshrrev_b32_e32 v179, 16, v191
	v_add_f16_e32 v180, v191, v173
	v_fma_f16 v174, v174, v90, v178
	v_pack_b32_f16 v175, v175, v177
	v_add_f16_e32 v177, v180, v176
	v_add_f16_e32 v180, v179, v172
	v_add_f16_e32 v180, v180, v174
	v_pack_b32_f16 v177, v177, v180
	v_add_f16_e32 v178, v173, v176
	ds_write2_b32 v100, v175, v177 offset0:80 offset1:170
	v_sub_f16_e32 v175, v172, v174
	v_add_f16_e32 v172, v172, v174
	v_fma_f16 v178, v178, -0.5, v191
	v_fma_f16 v172, v172, -0.5, v179
	v_sub_f16_e32 v173, v173, v176
	v_fma_f16 v177, v175, s0, v178
	v_fma_f16 v175, v175, s1, v178
	;; [unrolled: 1-line block ×4, first 2 shown]
	v_pack_b32_f16 v173, v177, v174
	v_pack_b32_f16 v172, v175, v172
	ds_write_b32 v134, v173 offset:6840
	ds_write_b32 v134, v172 offset:10440
	s_waitcnt lgkmcnt(0)
	s_barrier
	global_load_dword v178, v[53:54], off offset:2608
	v_add_co_u32_e32 v53, vcc, s2, v140
	v_addc_co_u32_e32 v54, vcc, 0, v141, vcc
	global_load_dword v180, v[53:54], off offset:1800
	global_load_dword v181, v[53:54], off offset:2160
	s_movk_i32 s2, 0x4000
	v_add_co_u32_e32 v172, vcc, s2, v140
	v_addc_co_u32_e32 v173, vcc, 0, v141, vcc
	global_load_dword v183, v[172:173], off offset:1616
	global_load_dword v184, v[172:173], off offset:1256
	;; [unrolled: 1-line block ×9, first 2 shown]
	ds_read2_b32 v[174:175], v134 offset1:90
	global_load_dword v192, v[53:54], off offset:720
	global_load_dword v193, v[53:54], off offset:1080
	;; [unrolled: 1-line block ×4, first 2 shown]
	s_movk_i32 s2, 0x3000
	v_add_co_u32_e32 v176, vcc, s2, v140
	v_addc_co_u32_e32 v177, vcc, 0, v141, vcc
	global_load_dword v196, v[176:177], off offset:2832
	s_waitcnt lgkmcnt(0)
	v_lshrrev_b32_e32 v179, 16, v174
	s_movk_i32 s2, 0x5000
	v_add_co_u32_e32 v140, vcc, s2, v140
	v_addc_co_u32_e32 v141, vcc, 0, v141, vcc
	s_mov_b32 s2, 0xffff
	s_waitcnt vmcnt(16)
	v_mul_f16_sdwa v182, v174, v178 dst_sel:DWORD dst_unused:UNUSED_PAD src0_sel:DWORD src1_sel:WORD_1
	v_fma_f16 v182, v179, v178, v182
	v_mul_f16_sdwa v179, v179, v178 dst_sel:DWORD dst_unused:UNUSED_PAD src0_sel:DWORD src1_sel:WORD_1
	v_fma_f16 v174, v174, v178, -v179
	v_pack_b32_f16 v174, v174, v182
	ds_write_b32 v134, v174
	ds_read2_b32 v[178:179], v118 offset0:104 offset1:194
	global_load_dword v197, v[172:173], off offset:2336
	global_load_dword v198, v[172:173], off offset:2696
	;; [unrolled: 1-line block ×5, first 2 shown]
	ds_read2_b32 v[172:173], v111 offset0:28 offset1:118
	global_load_dword v205, v[176:177], off offset:3912
	s_waitcnt lgkmcnt(1)
	v_lshrrev_b32_e32 v174, 16, v179
	s_waitcnt vmcnt(21)
	v_mul_f16_sdwa v182, v179, v180 dst_sel:DWORD dst_unused:UNUSED_PAD src0_sel:DWORD src1_sel:WORD_1
	v_fma_f16 v182, v174, v180, v182
	v_mul_f16_sdwa v174, v174, v180 dst_sel:DWORD dst_unused:UNUSED_PAD src0_sel:DWORD src1_sel:WORD_1
	v_fma_f16 v174, v179, v180, -v174
	s_waitcnt lgkmcnt(0)
	v_lshrrev_b32_e32 v179, 16, v172
	s_waitcnt vmcnt(20)
	v_mul_f16_sdwa v202, v179, v181 dst_sel:DWORD dst_unused:UNUSED_PAD src0_sel:DWORD src1_sel:WORD_1
	v_mul_f16_sdwa v180, v172, v181 dst_sel:DWORD dst_unused:UNUSED_PAD src0_sel:DWORD src1_sel:WORD_1
	v_fma_f16 v172, v172, v181, -v202
	global_load_dword v202, v[176:177], off offset:3192
	v_pack_b32_f16 v174, v174, v182
	v_fma_f16 v182, v179, v181, v180
	ds_read2_b32 v[179:180], v135 offset0:8 offset1:98
	v_pack_b32_f16 v172, v172, v182
	v_add_u32_e32 v181, 0x600, v134
	ds_write2_b32 v181, v174, v172 offset0:66 offset1:156
	ds_read2_b32 v[181:182], v102 offset0:84 offset1:174
	s_waitcnt lgkmcnt(2)
	v_lshrrev_b32_e32 v172, 16, v179
	s_waitcnt vmcnt(20)
	v_mul_f16_sdwa v174, v179, v183 dst_sel:DWORD dst_unused:UNUSED_PAD src0_sel:DWORD src1_sel:WORD_1
	v_fma_f16 v174, v172, v183, v174
	v_mul_f16_sdwa v172, v172, v183 dst_sel:DWORD dst_unused:UNUSED_PAD src0_sel:DWORD src1_sel:WORD_1
	v_fma_f16 v172, v179, v183, -v172
	v_pack_b32_f16 v172, v172, v174
	s_waitcnt lgkmcnt(0)
	v_lshrrev_b32_e32 v174, 16, v182
	s_waitcnt vmcnt(19)
	v_mul_f16_sdwa v179, v182, v184 dst_sel:DWORD dst_unused:UNUSED_PAD src0_sel:DWORD src1_sel:WORD_1
	v_fma_f16 v179, v174, v184, v179
	v_mul_f16_sdwa v174, v174, v184 dst_sel:DWORD dst_unused:UNUSED_PAD src0_sel:DWORD src1_sel:WORD_1
	v_fma_f16 v174, v182, v184, -v174
	global_load_dword v184, v[176:177], off offset:3552
	ds_read2_b32 v[182:183], v136 offset0:132 offset1:222
	v_pack_b32_f16 v174, v174, v179
	v_add_u32_e32 v179, 0x1a00, v134
	ds_write2_b32 v179, v174, v172 offset0:46 offset1:136
	v_lshrrev_b32_e32 v172, 16, v175
	s_waitcnt vmcnt(19)
	v_mul_f16_sdwa v174, v172, v185 dst_sel:DWORD dst_unused:UNUSED_PAD src0_sel:DWORD src1_sel:WORD_1
	v_fma_f16 v179, v175, v185, -v174
	v_mul_f16_sdwa v174, v175, v185 dst_sel:DWORD dst_unused:UNUSED_PAD src0_sel:DWORD src1_sel:WORD_1
	v_fma_f16 v172, v172, v185, v174
	s_waitcnt lgkmcnt(1)
	v_lshrrev_b32_e32 v174, 16, v182
	s_waitcnt vmcnt(18)
	v_mul_f16_sdwa v175, v182, v186 dst_sel:DWORD dst_unused:UNUSED_PAD src0_sel:DWORD src1_sel:WORD_1
	v_fma_f16 v203, v174, v186, v175
	v_mul_f16_sdwa v174, v174, v186 dst_sel:DWORD dst_unused:UNUSED_PAD src0_sel:DWORD src1_sel:WORD_1
	v_fma_f16 v182, v182, v186, -v174
	v_lshrrev_b32_e32 v174, 16, v183
	s_waitcnt vmcnt(15)
	v_mul_f16_sdwa v175, v174, v189 dst_sel:DWORD dst_unused:UNUSED_PAD src0_sel:DWORD src1_sel:WORD_1
	v_fma_f16 v186, v183, v189, -v175
	v_mul_f16_sdwa v175, v183, v189 dst_sel:DWORD dst_unused:UNUSED_PAD src0_sel:DWORD src1_sel:WORD_1
	v_fma_f16 v183, v174, v189, v175
	v_lshrrev_b32_e32 v189, 16, v180
	s_waitcnt vmcnt(14)
	v_mul_f16_sdwa v174, v189, v190 dst_sel:DWORD dst_unused:UNUSED_PAD src0_sel:DWORD src1_sel:WORD_1
	v_fma_f16 v204, v180, v190, -v174
	ds_read2_b32 v[174:175], v132 offset0:52 offset1:142
	v_mul_f16_sdwa v176, v180, v190 dst_sel:DWORD dst_unused:UNUSED_PAD src0_sel:DWORD src1_sel:WORD_1
	v_fma_f16 v189, v189, v190, v176
	v_pack_b32_f16 v172, v179, v172
	global_load_dword v185, v[53:54], off offset:3240
	s_waitcnt lgkmcnt(0)
	v_lshrrev_b32_e32 v176, 16, v174
	s_waitcnt vmcnt(13)
	v_mul_f16_sdwa v177, v174, v192 dst_sel:DWORD dst_unused:UNUSED_PAD src0_sel:DWORD src1_sel:WORD_1
	v_fma_f16 v179, v176, v192, v177
	v_mul_f16_sdwa v180, v176, v192 dst_sel:DWORD dst_unused:UNUSED_PAD src0_sel:DWORD src1_sel:WORD_1
	ds_read2_b32 v[176:177], v128 offset0:56 offset1:146
	v_fma_f16 v174, v174, v192, -v180
	v_pack_b32_f16 v174, v174, v179
	ds_write2_b32 v134, v172, v174 offset0:90 offset1:180
	v_pack_b32_f16 v172, v186, v183
	s_waitcnt lgkmcnt(1)
	v_lshrrev_b32_e32 v174, 16, v176
	s_waitcnt vmcnt(9)
	v_mul_f16_sdwa v179, v176, v196 dst_sel:DWORD dst_unused:UNUSED_PAD src0_sel:DWORD src1_sel:WORD_1
	v_fma_f16 v183, v174, v196, v179
	ds_read2_b32 v[179:180], v131 offset0:60 offset1:150
	v_mul_f16_sdwa v174, v174, v196 dst_sel:DWORD dst_unused:UNUSED_PAD src0_sel:DWORD src1_sel:WORD_1
	v_fma_f16 v174, v176, v196, -v174
	v_pack_b32_f16 v174, v174, v183
	ds_write2_b32 v137, v172, v174 offset0:94 offset1:184
	s_waitcnt lgkmcnt(1)
	v_lshrrev_b32_e32 v174, 16, v179
	s_waitcnt vmcnt(8)
	v_mul_f16_sdwa v176, v179, v197 dst_sel:DWORD dst_unused:UNUSED_PAD src0_sel:DWORD src1_sel:WORD_1
	v_fma_f16 v176, v174, v197, v176
	v_mul_f16_sdwa v174, v174, v197 dst_sel:DWORD dst_unused:UNUSED_PAD src0_sel:DWORD src1_sel:WORD_1
	v_fma_f16 v174, v179, v197, -v174
	v_pack_b32_f16 v172, v204, v189
	v_pack_b32_f16 v174, v174, v176
	global_load_dword v176, v[140:141], off offset:40
	ds_write2_b32 v135, v172, v174 offset0:98 offset1:188
	v_lshrrev_b32_e32 v172, 16, v175
	v_mul_f16_sdwa v174, v172, v193 dst_sel:DWORD dst_unused:UNUSED_PAD src0_sel:DWORD src1_sel:WORD_1
	v_fma_f16 v174, v175, v193, -v174
	v_mul_f16_sdwa v175, v175, v193 dst_sel:DWORD dst_unused:UNUSED_PAD src0_sel:DWORD src1_sel:WORD_1
	v_fma_f16 v172, v172, v193, v175
	global_load_dword v175, v[140:141], off offset:400
	global_load_dword v179, v[140:141], off offset:760
	;; [unrolled: 1-line block ×3, first 2 shown]
	v_lshrrev_b32_e32 v140, 16, v177
	s_waitcnt vmcnt(6)
	v_mul_f16_sdwa v53, v177, v202 dst_sel:DWORD dst_unused:UNUSED_PAD src0_sel:DWORD src1_sel:WORD_1
	v_mul_f16_sdwa v141, v140, v202 dst_sel:DWORD dst_unused:UNUSED_PAD src0_sel:DWORD src1_sel:WORD_1
	v_fma_f16 v140, v140, v202, v53
	v_lshrrev_b32_e32 v53, 16, v180
	v_mul_f16_sdwa v54, v53, v198 dst_sel:DWORD dst_unused:UNUSED_PAD src0_sel:DWORD src1_sel:WORD_1
	v_fma_f16 v141, v177, v202, -v141
	v_fma_f16 v177, v180, v198, -v54
	v_mul_f16_sdwa v54, v180, v198 dst_sel:DWORD dst_unused:UNUSED_PAD src0_sel:DWORD src1_sel:WORD_1
	v_fma_f16 v180, v53, v198, v54
	v_lshrrev_b32_e32 v53, 16, v178
	v_mul_f16_sdwa v54, v53, v195 dst_sel:DWORD dst_unused:UNUSED_PAD src0_sel:DWORD src1_sel:WORD_1
	v_fma_f16 v186, v178, v195, -v54
	v_mul_f16_sdwa v54, v178, v195 dst_sel:DWORD dst_unused:UNUSED_PAD src0_sel:DWORD src1_sel:WORD_1
	v_fma_f16 v178, v53, v195, v54
	ds_read2_b32 v[53:54], v121 offset0:108 offset1:198
	v_pack_b32_f16 v172, v174, v172
	v_pack_b32_f16 v174, v186, v178
	ds_write2_b32 v118, v172, v174 offset0:14 offset1:104
	v_pack_b32_f16 v172, v141, v140
	s_waitcnt lgkmcnt(1)
	v_lshrrev_b32_e32 v140, 16, v53
	s_waitcnt vmcnt(5)
	v_mul_f16_sdwa v141, v53, v184 dst_sel:DWORD dst_unused:UNUSED_PAD src0_sel:DWORD src1_sel:WORD_1
	v_fma_f16 v174, v140, v184, v141
	v_mul_f16_sdwa v178, v140, v184 dst_sel:DWORD dst_unused:UNUSED_PAD src0_sel:DWORD src1_sel:WORD_1
	ds_read2_b32 v[140:141], v115 offset0:112 offset1:202
	v_fma_f16 v53, v53, v184, -v178
	v_pack_b32_f16 v53, v53, v174
	ds_write2_b32 v128, v172, v53 offset0:146 offset1:236
	v_pack_b32_f16 v53, v177, v180
	s_waitcnt lgkmcnt(1)
	v_lshrrev_b32_e32 v172, 16, v140
	v_mul_f16_sdwa v174, v140, v199 dst_sel:DWORD dst_unused:UNUSED_PAD src0_sel:DWORD src1_sel:WORD_1
	v_fma_f16 v174, v172, v199, v174
	v_mul_f16_sdwa v172, v172, v199 dst_sel:DWORD dst_unused:UNUSED_PAD src0_sel:DWORD src1_sel:WORD_1
	v_fma_f16 v140, v140, v199, -v172
	v_pack_b32_f16 v140, v140, v174
	ds_write2_b32 v115, v53, v140 offset0:22 offset1:112
	v_lshrrev_b32_e32 v53, 16, v54
	v_mul_f16_sdwa v140, v53, v205 dst_sel:DWORD dst_unused:UNUSED_PAD src0_sel:DWORD src1_sel:WORD_1
	v_fma_f16 v140, v54, v205, -v140
	v_mul_f16_sdwa v54, v54, v205 dst_sel:DWORD dst_unused:UNUSED_PAD src0_sel:DWORD src1_sel:WORD_1
	v_fma_f16 v172, v53, v205, v54
	ds_read2_b32 v[53:54], v108 offset0:160 offset1:250
	v_lshrrev_b32_e32 v174, 16, v141
	v_mul_f16_sdwa v177, v174, v200 dst_sel:DWORD dst_unused:UNUSED_PAD src0_sel:DWORD src1_sel:WORD_1
	v_fma_f16 v177, v141, v200, -v177
	v_mul_f16_sdwa v141, v141, v200 dst_sel:DWORD dst_unused:UNUSED_PAD src0_sel:DWORD src1_sel:WORD_1
	v_fma_f16 v174, v174, v200, v141
	v_pack_b32_f16 v172, v140, v172
	s_waitcnt lgkmcnt(0)
	v_lshrrev_b32_e32 v140, 16, v53
	v_mul_f16_sdwa v141, v53, v191 dst_sel:DWORD dst_unused:UNUSED_PAD src0_sel:DWORD src1_sel:WORD_1
	v_fma_f16 v178, v140, v191, v141
	v_mul_f16_sdwa v180, v140, v191 dst_sel:DWORD dst_unused:UNUSED_PAD src0_sel:DWORD src1_sel:WORD_1
	ds_read2_b32 v[140:141], v106 offset0:36 offset1:126
	v_fma_f16 v53, v53, v191, -v180
	v_pack_b32_f16 v53, v53, v178
	ds_write2_b32 v108, v172, v53 offset0:70 offset1:160
	v_pack_b32_f16 v53, v177, v174
	s_waitcnt lgkmcnt(1)
	v_lshrrev_b32_e32 v172, 16, v140
	v_mul_f16_sdwa v174, v140, v201 dst_sel:DWORD dst_unused:UNUSED_PAD src0_sel:DWORD src1_sel:WORD_1
	v_fma_f16 v174, v172, v201, v174
	v_mul_f16_sdwa v172, v172, v201 dst_sel:DWORD dst_unused:UNUSED_PAD src0_sel:DWORD src1_sel:WORD_1
	v_fma_f16 v140, v140, v201, -v172
	v_pack_b32_f16 v140, v140, v174
	ds_write2_b32 v138, v53, v140 offset0:74 offset1:164
	v_lshrrev_b32_e32 v53, 16, v173
	v_mul_f16_sdwa v172, v173, v194 dst_sel:DWORD dst_unused:UNUSED_PAD src0_sel:DWORD src1_sel:WORD_1
	v_mul_f16_sdwa v140, v53, v194 dst_sel:DWORD dst_unused:UNUSED_PAD src0_sel:DWORD src1_sel:WORD_1
	v_fma_f16 v172, v53, v194, v172
	v_lshrrev_b32_e32 v53, 16, v54
	v_fma_f16 v140, v173, v194, -v140
	v_mul_f16_sdwa v173, v53, v187 dst_sel:DWORD dst_unused:UNUSED_PAD src0_sel:DWORD src1_sel:WORD_1
	v_fma_f16 v173, v54, v187, -v173
	v_mul_f16_sdwa v54, v54, v187 dst_sel:DWORD dst_unused:UNUSED_PAD src0_sel:DWORD src1_sel:WORD_1
	v_fma_f16 v174, v53, v187, v54
	ds_read2_b32 v[53:54], v100 offset0:80 offset1:170
	v_lshrrev_b32_e32 v177, 16, v141
	s_waitcnt vmcnt(3)
	v_mul_f16_sdwa v178, v177, v176 dst_sel:DWORD dst_unused:UNUSED_PAD src0_sel:DWORD src1_sel:WORD_1
	v_fma_f16 v178, v141, v176, -v178
	v_mul_f16_sdwa v141, v141, v176 dst_sel:DWORD dst_unused:UNUSED_PAD src0_sel:DWORD src1_sel:WORD_1
	v_fma_f16 v176, v177, v176, v141
	v_pack_b32_f16 v140, v140, v172
	s_waitcnt lgkmcnt(0)
	v_lshrrev_b32_e32 v141, 16, v53
	s_waitcnt vmcnt(0)
	v_mul_f16_sdwa v172, v53, v183 dst_sel:DWORD dst_unused:UNUSED_PAD src0_sel:DWORD src1_sel:WORD_1
	v_fma_f16 v172, v141, v183, v172
	v_mul_f16_sdwa v141, v141, v183 dst_sel:DWORD dst_unused:UNUSED_PAD src0_sel:DWORD src1_sel:WORD_1
	v_fma_f16 v53, v53, v183, -v141
	v_pack_b32_f16 v53, v53, v172
	ds_write2_b32 v111, v140, v53 offset0:118 offset1:208
	v_lshrrev_b32_e32 v53, 16, v181
	v_mul_f16_sdwa v140, v53, v188 dst_sel:DWORD dst_unused:UNUSED_PAD src0_sel:DWORD src1_sel:WORD_1
	v_fma_f16 v172, v181, v188, -v140
	v_mul_f16_sdwa v140, v181, v188 dst_sel:DWORD dst_unused:UNUSED_PAD src0_sel:DWORD src1_sel:WORD_1
	v_fma_f16 v53, v53, v188, v140
	ds_read2_b32 v[140:141], v101 offset0:88 offset1:178
	v_pack_b32_f16 v173, v173, v174
	v_pack_b32_f16 v53, v172, v53
	ds_write2_b32 v139, v173, v53 offset0:122 offset1:212
	v_pack_b32_f16 v53, v178, v176
	s_waitcnt lgkmcnt(1)
	v_lshrrev_b32_e32 v172, 16, v140
	v_mul_f16_sdwa v173, v140, v175 dst_sel:DWORD dst_unused:UNUSED_PAD src0_sel:DWORD src1_sel:WORD_1
	v_fma_f16 v173, v172, v175, v173
	v_mul_f16_sdwa v172, v172, v175 dst_sel:DWORD dst_unused:UNUSED_PAD src0_sel:DWORD src1_sel:WORD_1
	v_fma_f16 v140, v140, v175, -v172
	v_pack_b32_f16 v140, v140, v173
	ds_write2_b32 v106, v53, v140 offset0:126 offset1:216
	v_lshrrev_b32_e32 v53, 16, v54
	v_mul_f16_sdwa v140, v53, v185 dst_sel:DWORD dst_unused:UNUSED_PAD src0_sel:DWORD src1_sel:WORD_1
	v_fma_f16 v140, v54, v185, -v140
	v_mul_f16_sdwa v54, v54, v185 dst_sel:DWORD dst_unused:UNUSED_PAD src0_sel:DWORD src1_sel:WORD_1
	v_fma_f16 v53, v53, v185, v54
	v_pack_b32_f16 v54, v182, v203
	v_pack_b32_f16 v53, v140, v53
	ds_write2_b32 v136, v53, v54 offset0:42 offset1:132
	v_lshrrev_b32_e32 v53, 16, v141
	v_mul_f16_sdwa v54, v53, v179 dst_sel:DWORD dst_unused:UNUSED_PAD src0_sel:DWORD src1_sel:WORD_1
	v_mul_f16_sdwa v140, v141, v179 dst_sel:DWORD dst_unused:UNUSED_PAD src0_sel:DWORD src1_sel:WORD_1
	v_fma_f16 v54, v141, v179, -v54
	v_fma_f16 v53, v53, v179, v140
	v_pack_b32_f16 v53, v54, v53
	ds_write_b32 v134, v53 offset:10440
	s_waitcnt lgkmcnt(0)
	s_barrier
	ds_read2_b32 v[53:54], v132 offset0:52 offset1:142
	ds_read2_b32 v[140:141], v128 offset0:56 offset1:146
	;; [unrolled: 1-line block ×3, first 2 shown]
	s_waitcnt lgkmcnt(1)
	v_pk_add_f16 v174, v53, v140
	s_waitcnt lgkmcnt(0)
	v_pk_add_f16 v178, v140, v172
	v_pk_add_f16 v180, v140, v172 neg_lo:[0,1] neg_hi:[0,1]
	v_pk_add_f16 v179, v54, v141
	v_pk_add_f16 v181, v141, v173
	v_pk_add_f16 v182, v141, v173 neg_lo:[0,1] neg_hi:[0,1]
	v_pk_add_f16 v183, v174, v172
	ds_read2_b32 v[140:141], v118 offset0:104 offset1:194
	ds_read2_b32 v[174:175], v121 offset0:108 offset1:198
	;; [unrolled: 1-line block ×3, first 2 shown]
	v_pk_fma_f16 v185, v178, 0.5, v53 op_sel_hi:[1,0,1] neg_lo:[1,0,0] neg_hi:[1,0,0]
	v_pk_add_f16 v184, v179, v173
	v_pk_fma_f16 v181, v181, 0.5, v54 op_sel_hi:[1,0,1] neg_lo:[1,0,0] neg_hi:[1,0,0]
	s_waitcnt lgkmcnt(1)
	v_pk_add_f16 v53, v140, v174
	s_waitcnt lgkmcnt(0)
	v_pk_add_f16 v178, v174, v176
	v_pk_add_f16 v186, v174, v176 neg_lo:[0,1] neg_hi:[0,1]
	v_pk_add_f16 v179, v141, v175
	v_pk_add_f16 v187, v175, v177
	v_pk_add_f16 v188, v175, v177 neg_lo:[0,1] neg_hi:[0,1]
	v_pk_add_f16 v189, v53, v176
	ds_read2_b32 v[53:54], v111 offset0:28 offset1:118
	ds_read2_b32 v[172:173], v108 offset0:160 offset1:250
	;; [unrolled: 1-line block ×3, first 2 shown]
	v_pk_add_f16 v190, v179, v177
	v_pk_fma_f16 v191, v178, 0.5, v140 op_sel_hi:[1,0,1] neg_lo:[1,0,0] neg_hi:[1,0,0]
	v_pk_fma_f16 v187, v187, 0.5, v141 op_sel_hi:[1,0,1] neg_lo:[1,0,0] neg_hi:[1,0,0]
	s_waitcnt lgkmcnt(1)
	v_pk_add_f16 v140, v53, v172
	s_waitcnt lgkmcnt(0)
	v_pk_add_f16 v178, v172, v174
	v_pk_add_f16 v179, v54, v173
	;; [unrolled: 1-line block ×3, first 2 shown]
	v_pk_add_f16 v192, v172, v174 neg_lo:[0,1] neg_hi:[0,1]
	v_pk_add_f16 v194, v173, v175 neg_lo:[0,1] neg_hi:[0,1]
	v_pk_add_f16 v195, v140, v174
	ds_read2_b32 v[140:141], v100 offset0:80 offset1:170
	ds_read2_b32 v[172:173], v102 offset0:84 offset1:174
	;; [unrolled: 1-line block ×3, first 2 shown]
	v_pk_add_f16 v196, v179, v175
	v_pk_fma_f16 v197, v178, 0.5, v53 op_sel_hi:[1,0,1] neg_lo:[1,0,0] neg_hi:[1,0,0]
	v_pk_fma_f16 v193, v193, 0.5, v54 op_sel_hi:[1,0,1] neg_lo:[1,0,0] neg_hi:[1,0,0]
	ds_read2_b32 v[53:54], v134 offset1:90
	ds_read2_b32 v[174:175], v136 offset0:132 offset1:222
	ds_read2_b32 v[178:179], v135 offset0:8 offset1:98
	s_waitcnt lgkmcnt(4)
	v_pk_add_f16 v198, v140, v172
	s_waitcnt lgkmcnt(3)
	v_pk_add_f16 v199, v172, v176
	v_pk_add_f16 v172, v172, v176 neg_lo:[0,1] neg_hi:[0,1]
	s_waitcnt lgkmcnt(1)
	v_pk_add_f16 v202, v53, v174
	s_waitcnt lgkmcnt(0)
	v_pk_add_f16 v203, v174, v178
	v_pk_add_f16 v174, v174, v178 neg_lo:[0,1] neg_hi:[0,1]
	v_pk_add_f16 v200, v141, v173
	v_pk_add_f16 v176, v198, v176
	;; [unrolled: 1-line block ×3, first 2 shown]
	v_pk_fma_f16 v53, v203, 0.5, v53 op_sel_hi:[1,0,1] neg_lo:[1,0,0] neg_hi:[1,0,0]
	v_pk_mul_f16 v174, v174, s0 op_sel_hi:[1,0]
	v_pk_add_f16 v201, v173, v177
	v_pk_add_f16 v173, v173, v177 neg_lo:[0,1] neg_hi:[0,1]
	v_pk_add_f16 v177, v200, v177
	v_pk_add_f16 v200, v175, v179
	v_pk_add_f16 v175, v175, v179 neg_lo:[0,1] neg_hi:[0,1]
	v_pk_add_f16 v179, v198, v179
	v_pk_add_f16 v198, v53, v174 op_sel:[0,1] op_sel_hi:[1,0] neg_lo:[0,1] neg_hi:[0,1]
	v_pk_add_f16 v53, v53, v174 op_sel:[0,1] op_sel_hi:[1,0]
	v_bfi_b32 v174, s2, v198, v53
	v_bfi_b32 v53, s2, v53, v198
	v_pk_add_f16 v178, v202, v178
	v_pk_fma_f16 v54, v200, 0.5, v54 op_sel_hi:[1,0,1] neg_lo:[1,0,0] neg_hi:[1,0,0]
	s_barrier
	ds_write_b32 v144, v53 offset:8
	v_pk_mul_f16 v53, v175, s0 op_sel_hi:[1,0]
	ds_write2_b32 v144, v178, v174 offset1:1
	v_pk_add_f16 v144, v54, v53 op_sel:[0,1] op_sel_hi:[1,0] neg_lo:[0,1] neg_hi:[0,1]
	v_pk_add_f16 v53, v54, v53 op_sel:[0,1] op_sel_hi:[1,0]
	v_bfi_b32 v54, s2, v144, v53
	v_bfi_b32 v53, s2, v53, v144
	ds_write_b32 v145, v53 offset:8
	v_pk_mul_f16 v53, v180, s0 op_sel_hi:[1,0]
	ds_write2_b32 v145, v179, v54 offset1:1
	v_pk_add_f16 v54, v185, v53 op_sel:[0,1] op_sel_hi:[1,0] neg_lo:[0,1] neg_hi:[0,1]
	v_pk_add_f16 v53, v185, v53 op_sel:[0,1] op_sel_hi:[1,0]
	v_bfi_b32 v144, s2, v54, v53
	v_bfi_b32 v53, s2, v53, v54
	ds_write_b32 v146, v53 offset:8
	v_pk_mul_f16 v53, v182, s0 op_sel_hi:[1,0]
	v_pk_add_f16 v54, v181, v53 op_sel:[0,1] op_sel_hi:[1,0] neg_lo:[0,1] neg_hi:[0,1]
	v_pk_add_f16 v53, v181, v53 op_sel:[0,1] op_sel_hi:[1,0]
	ds_write2_b32 v146, v183, v144 offset1:1
	v_bfi_b32 v144, s2, v54, v53
	v_bfi_b32 v53, s2, v53, v54
	ds_write_b32 v148, v53 offset:8
	v_pk_mul_f16 v53, v186, s0 op_sel_hi:[1,0]
	v_pk_add_f16 v54, v191, v53 op_sel:[0,1] op_sel_hi:[1,0] neg_lo:[0,1] neg_hi:[0,1]
	v_pk_add_f16 v53, v191, v53 op_sel:[0,1] op_sel_hi:[1,0]
	ds_write2_b32 v148, v184, v144 offset1:1
	v_bfi_b32 v144, s2, v54, v53
	v_bfi_b32 v53, s2, v53, v54
	ds_write_b32 v150, v53 offset:8
	v_pk_mul_f16 v53, v188, s0 op_sel_hi:[1,0]
	v_pk_add_f16 v54, v187, v53 op_sel:[0,1] op_sel_hi:[1,0] neg_lo:[0,1] neg_hi:[0,1]
	v_pk_add_f16 v53, v187, v53 op_sel:[0,1] op_sel_hi:[1,0]
	ds_write2_b32 v150, v189, v144 offset1:1
	v_bfi_b32 v144, s2, v54, v53
	v_bfi_b32 v53, s2, v53, v54
	ds_write_b32 v151, v53 offset:8
	v_pk_mul_f16 v53, v192, s0 op_sel_hi:[1,0]
	v_pk_add_f16 v54, v197, v53 op_sel:[0,1] op_sel_hi:[1,0] neg_lo:[0,1] neg_hi:[0,1]
	v_pk_add_f16 v53, v197, v53 op_sel:[0,1] op_sel_hi:[1,0]
	ds_write2_b32 v151, v190, v144 offset1:1
	v_bfi_b32 v144, s2, v54, v53
	v_bfi_b32 v53, s2, v53, v54
	ds_write_b32 v152, v53 offset:8
	v_pk_mul_f16 v53, v194, s0 op_sel_hi:[1,0]
	v_pk_add_f16 v54, v193, v53 op_sel:[0,1] op_sel_hi:[1,0] neg_lo:[0,1] neg_hi:[0,1]
	v_pk_add_f16 v53, v193, v53 op_sel:[0,1] op_sel_hi:[1,0]
	ds_write2_b32 v152, v195, v144 offset1:1
	v_bfi_b32 v144, s2, v54, v53
	v_bfi_b32 v53, s2, v53, v54
	ds_write_b32 v153, v53 offset:8
	v_pk_fma_f16 v53, v199, 0.5, v140 op_sel_hi:[1,0,1] neg_lo:[1,0,0] neg_hi:[1,0,0]
	v_pk_mul_f16 v54, v172, s0 op_sel_hi:[1,0]
	v_pk_add_f16 v140, v53, v54 op_sel:[0,1] op_sel_hi:[1,0] neg_lo:[0,1] neg_hi:[0,1]
	v_pk_add_f16 v53, v53, v54 op_sel:[0,1] op_sel_hi:[1,0]
	v_bfi_b32 v54, s2, v140, v53
	v_bfi_b32 v53, s2, v53, v140
	ds_write2_b32 v153, v196, v144 offset1:1
	ds_write2_b32 v154, v176, v54 offset1:1
	ds_write_b32 v154, v53 offset:8
	v_pk_fma_f16 v53, v201, 0.5, v141 op_sel_hi:[1,0,1] neg_lo:[1,0,0] neg_hi:[1,0,0]
	v_pk_mul_f16 v54, v173, s0 op_sel_hi:[1,0]
	v_pk_add_f16 v140, v53, v54 op_sel:[0,1] op_sel_hi:[1,0] neg_lo:[0,1] neg_hi:[0,1]
	v_pk_add_f16 v53, v53, v54 op_sel:[0,1] op_sel_hi:[1,0]
	v_bfi_b32 v54, s2, v140, v53
	v_bfi_b32 v53, s2, v53, v140
	ds_write2_b32 v156, v177, v54 offset1:1
	ds_write_b32 v156, v53 offset:8
	s_waitcnt lgkmcnt(0)
	s_barrier
	ds_read2_b32 v[53:54], v132 offset0:52 offset1:142
	ds_read2_b32 v[140:141], v111 offset0:28 offset1:118
	;; [unrolled: 1-line block ×4, first 2 shown]
	s_mov_b32 s2, 0xb4f2
	s_waitcnt lgkmcnt(3)
	v_lshrrev_b32_e32 v144, 16, v54
	v_mul_f16_sdwa v145, v4, v54 dst_sel:DWORD dst_unused:UNUSED_PAD src0_sel:WORD_1 src1_sel:DWORD
	v_fma_f16 v151, v4, v144, -v145
	v_mul_f16_sdwa v144, v4, v144 dst_sel:DWORD dst_unused:UNUSED_PAD src0_sel:WORD_1 src1_sel:DWORD
	v_fma_f16 v152, v4, v54, v144
	s_waitcnt lgkmcnt(2)
	v_lshrrev_b32_e32 v4, 16, v140
	v_mul_f16_sdwa v54, v5, v140 dst_sel:DWORD dst_unused:UNUSED_PAD src0_sel:WORD_1 src1_sel:DWORD
	v_fma_f16 v154, v5, v4, -v54
	v_mul_f16_sdwa v4, v5, v4 dst_sel:DWORD dst_unused:UNUSED_PAD src0_sel:WORD_1 src1_sel:DWORD
	v_fma_f16 v173, v5, v140, v4
	ds_read2_b32 v[4:5], v128 offset0:56 offset1:146
	s_waitcnt lgkmcnt(2)
	v_lshrrev_b32_e32 v54, 16, v177
	v_mul_f16_sdwa v140, v6, v177 dst_sel:DWORD dst_unused:UNUSED_PAD src0_sel:WORD_1 src1_sel:DWORD
	v_fma_f16 v153, v6, v54, -v140
	v_mul_f16_sdwa v54, v6, v54 dst_sel:DWORD dst_unused:UNUSED_PAD src0_sel:WORD_1 src1_sel:DWORD
	v_fma_f16 v156, v6, v177, v54
	s_waitcnt lgkmcnt(0)
	v_lshrrev_b32_e32 v6, 16, v4
	v_mul_f16_sdwa v54, v7, v4 dst_sel:DWORD dst_unused:UNUSED_PAD src0_sel:WORD_1 src1_sel:DWORD
	v_fma_f16 v174, v7, v6, -v54
	v_mul_f16_sdwa v6, v7, v6 dst_sel:DWORD dst_unused:UNUSED_PAD src0_sel:WORD_1 src1_sel:DWORD
	v_fma_f16 v175, v7, v4, v6
	v_lshrrev_b32_e32 v4, 16, v141
	v_mul_f16_sdwa v6, v17, v4 dst_sel:DWORD dst_unused:UNUSED_PAD src0_sel:WORD_1 src1_sel:DWORD
	v_fma_f16 v144, v17, v141, v6
	v_mul_f16_sdwa v6, v17, v141 dst_sel:DWORD dst_unused:UNUSED_PAD src0_sel:WORD_1 src1_sel:DWORD
	v_fma_f16 v54, v17, v4, -v6
	ds_read2_b32 v[6:7], v118 offset0:104 offset1:194
	v_lshrrev_b32_e32 v4, 16, v5
	ds_read2_b32 v[177:178], v136 offset0:132 offset1:222
	v_mul_f16_sdwa v17, v19, v4 dst_sel:DWORD dst_unused:UNUSED_PAD src0_sel:WORD_1 src1_sel:DWORD
	v_fma_f16 v150, v19, v5, v17
	v_mul_f16_sdwa v5, v19, v5 dst_sel:DWORD dst_unused:UNUSED_PAD src0_sel:WORD_1 src1_sel:DWORD
	v_fma_f16 v146, v19, v4, -v5
	s_waitcnt lgkmcnt(1)
	v_lshrrev_b32_e32 v4, 16, v6
	v_mul_f16_sdwa v5, v16, v6 dst_sel:DWORD dst_unused:UNUSED_PAD src0_sel:WORD_1 src1_sel:DWORD
	v_fma_f16 v140, v16, v4, -v5
	v_mul_f16_sdwa v4, v16, v4 dst_sel:DWORD dst_unused:UNUSED_PAD src0_sel:WORD_1 src1_sel:DWORD
	v_fma_f16 v145, v16, v6, v4
	s_waitcnt lgkmcnt(0)
	v_lshrrev_b32_e32 v4, 16, v177
	v_mul_f16_sdwa v5, v18, v177 dst_sel:DWORD dst_unused:UNUSED_PAD src0_sel:WORD_1 src1_sel:DWORD
	v_fma_f16 v141, v18, v4, -v5
	v_mul_f16_sdwa v4, v18, v4 dst_sel:DWORD dst_unused:UNUSED_PAD src0_sel:WORD_1 src1_sel:DWORD
	v_fma_f16 v148, v18, v177, v4
	v_lshrrev_b32_e32 v4, 16, v7
	v_mul_f16_sdwa v6, v32, v7 dst_sel:DWORD dst_unused:UNUSED_PAD src0_sel:WORD_1 src1_sel:DWORD
	v_mul_f16_sdwa v5, v32, v4 dst_sel:DWORD dst_unused:UNUSED_PAD src0_sel:WORD_1 src1_sel:DWORD
	v_fma_f16 v4, v32, v4, -v6
	v_lshrrev_b32_e32 v6, 16, v176
	v_fma_f16 v5, v32, v7, v5
	v_mul_f16_sdwa v7, v33, v6 dst_sel:DWORD dst_unused:UNUSED_PAD src0_sel:WORD_1 src1_sel:DWORD
	v_fma_f16 v17, v33, v176, v7
	v_mul_f16_sdwa v7, v33, v176 dst_sel:DWORD dst_unused:UNUSED_PAD src0_sel:WORD_1 src1_sel:DWORD
	v_fma_f16 v16, v33, v6, -v7
	ds_read2_b32 v[32:33], v121 offset0:108 offset1:198
	v_lshrrev_b32_e32 v6, 16, v178
	v_mul_f16_sdwa v18, v34, v178 dst_sel:DWORD dst_unused:UNUSED_PAD src0_sel:WORD_1 src1_sel:DWORD
	v_mul_f16_sdwa v7, v34, v6 dst_sel:DWORD dst_unused:UNUSED_PAD src0_sel:WORD_1 src1_sel:DWORD
	v_fma_f16 v6, v34, v6, -v18
	s_waitcnt lgkmcnt(0)
	v_lshrrev_b32_e32 v19, 16, v32
	v_mul_f16_sdwa v18, v35, v32 dst_sel:DWORD dst_unused:UNUSED_PAD src0_sel:WORD_1 src1_sel:DWORD
	v_fma_f16 v18, v35, v19, -v18
	v_mul_f16_sdwa v19, v35, v19 dst_sel:DWORD dst_unused:UNUSED_PAD src0_sel:WORD_1 src1_sel:DWORD
	v_fma_f16 v7, v34, v178, v7
	v_fma_f16 v19, v35, v32, v19
	ds_read2_b32 v[34:35], v102 offset0:84 offset1:174
	v_lshrrev_b32_e32 v32, 16, v33
	v_mul_f16_sdwa v172, v0, v32 dst_sel:DWORD dst_unused:UNUSED_PAD src0_sel:WORD_1 src1_sel:DWORD
	v_fma_f16 v177, v0, v33, v172
	v_mul_f16_sdwa v33, v0, v33 dst_sel:DWORD dst_unused:UNUSED_PAD src0_sel:WORD_1 src1_sel:DWORD
	v_fma_f16 v176, v0, v32, -v33
	s_waitcnt lgkmcnt(0)
	v_lshrrev_b32_e32 v0, 16, v34
	v_mul_f16_sdwa v32, v1, v34 dst_sel:DWORD dst_unused:UNUSED_PAD src0_sel:WORD_1 src1_sel:DWORD
	v_fma_f16 v179, v1, v0, -v32
	v_mul_f16_sdwa v0, v1, v0 dst_sel:DWORD dst_unused:UNUSED_PAD src0_sel:WORD_1 src1_sel:DWORD
	v_fma_f16 v181, v1, v34, v0
	ds_read2_b32 v[0:1], v115 offset0:112 offset1:202
	v_lshrrev_b32_e32 v32, 16, v185
	v_mul_f16_sdwa v33, v2, v185 dst_sel:DWORD dst_unused:UNUSED_PAD src0_sel:WORD_1 src1_sel:DWORD
	v_fma_f16 v178, v2, v32, -v33
	v_mul_f16_sdwa v32, v2, v32 dst_sel:DWORD dst_unused:UNUSED_PAD src0_sel:WORD_1 src1_sel:DWORD
	v_fma_f16 v180, v2, v185, v32
	s_waitcnt lgkmcnt(0)
	v_lshrrev_b32_e32 v2, 16, v0
	v_mul_f16_sdwa v32, v3, v0 dst_sel:DWORD dst_unused:UNUSED_PAD src0_sel:WORD_1 src1_sel:DWORD
	v_fma_f16 v182, v3, v2, -v32
	v_mul_f16_sdwa v2, v3, v2 dst_sel:DWORD dst_unused:UNUSED_PAD src0_sel:WORD_1 src1_sel:DWORD
	v_fma_f16 v183, v3, v0, v2
	v_lshrrev_b32_e32 v0, 16, v35
	v_mul_f16_sdwa v2, v29, v0 dst_sel:DWORD dst_unused:UNUSED_PAD src0_sel:WORD_1 src1_sel:DWORD
	v_fma_f16 v33, v29, v35, v2
	v_mul_f16_sdwa v2, v29, v35 dst_sel:DWORD dst_unused:UNUSED_PAD src0_sel:WORD_1 src1_sel:DWORD
	v_fma_f16 v32, v29, v0, -v2
	ds_read2_b32 v[2:3], v108 offset0:160 offset1:250
	v_lshrrev_b32_e32 v0, 16, v1
	ds_read2_b32 v[185:186], v131 offset0:60 offset1:150
	v_mul_f16_sdwa v29, v31, v0 dst_sel:DWORD dst_unused:UNUSED_PAD src0_sel:WORD_1 src1_sel:DWORD
	v_fma_f16 v172, v31, v1, v29
	v_mul_f16_sdwa v1, v31, v1 dst_sel:DWORD dst_unused:UNUSED_PAD src0_sel:WORD_1 src1_sel:DWORD
	v_fma_f16 v35, v31, v0, -v1
	s_waitcnt lgkmcnt(1)
	v_lshrrev_b32_e32 v0, 16, v2
	v_mul_f16_sdwa v1, v28, v2 dst_sel:DWORD dst_unused:UNUSED_PAD src0_sel:WORD_1 src1_sel:DWORD
	v_fma_f16 v29, v28, v0, -v1
	v_mul_f16_sdwa v0, v28, v0 dst_sel:DWORD dst_unused:UNUSED_PAD src0_sel:WORD_1 src1_sel:DWORD
	v_fma_f16 v34, v28, v2, v0
	s_waitcnt lgkmcnt(0)
	v_lshrrev_b32_e32 v0, 16, v185
	v_mul_f16_sdwa v1, v30, v185 dst_sel:DWORD dst_unused:UNUSED_PAD src0_sel:WORD_1 src1_sel:DWORD
	v_fma_f16 v31, v30, v0, -v1
	v_mul_f16_sdwa v0, v30, v0 dst_sel:DWORD dst_unused:UNUSED_PAD src0_sel:WORD_1 src1_sel:DWORD
	v_fma_f16 v30, v30, v185, v0
	v_lshrrev_b32_e32 v0, 16, v3
	v_mul_f16_sdwa v2, v24, v3 dst_sel:DWORD dst_unused:UNUSED_PAD src0_sel:WORD_1 src1_sel:DWORD
	v_mul_f16_sdwa v1, v24, v0 dst_sel:DWORD dst_unused:UNUSED_PAD src0_sel:WORD_1 src1_sel:DWORD
	v_fma_f16 v0, v24, v0, -v2
	v_lshrrev_b32_e32 v2, 16, v184
	v_fma_f16 v1, v24, v3, v1
	v_mul_f16_sdwa v3, v25, v2 dst_sel:DWORD dst_unused:UNUSED_PAD src0_sel:WORD_1 src1_sel:DWORD
	v_fma_f16 v28, v25, v184, v3
	v_mul_f16_sdwa v3, v25, v184 dst_sel:DWORD dst_unused:UNUSED_PAD src0_sel:WORD_1 src1_sel:DWORD
	ds_read2_b32 v[184:185], v106 offset0:36 offset1:126
	v_fma_f16 v24, v25, v2, -v3
	v_lshrrev_b32_e32 v2, 16, v186
	v_mul_f16_sdwa v3, v26, v2 dst_sel:DWORD dst_unused:UNUSED_PAD src0_sel:WORD_1 src1_sel:DWORD
	v_mul_f16_sdwa v25, v26, v186 dst_sel:DWORD dst_unused:UNUSED_PAD src0_sel:WORD_1 src1_sel:DWORD
	v_fma_f16 v3, v26, v186, v3
	v_fma_f16 v2, v26, v2, -v25
	s_waitcnt lgkmcnt(0)
	v_lshrrev_b32_e32 v26, 16, v184
	v_mul_f16_sdwa v25, v27, v184 dst_sel:DWORD dst_unused:UNUSED_PAD src0_sel:WORD_1 src1_sel:DWORD
	v_fma_f16 v25, v27, v26, -v25
	v_mul_f16_sdwa v26, v27, v26 dst_sel:DWORD dst_unused:UNUSED_PAD src0_sel:WORD_1 src1_sel:DWORD
	v_fma_f16 v26, v27, v184, v26
	v_lshrrev_b32_e32 v27, 16, v185
	v_mul_f16_sdwa v184, v142, v27 dst_sel:DWORD dst_unused:UNUSED_PAD src0_sel:WORD_1 src1_sel:DWORD
	v_fma_f16 v184, v142, v185, v184
	v_mul_f16_sdwa v185, v142, v185 dst_sel:DWORD dst_unused:UNUSED_PAD src0_sel:WORD_1 src1_sel:DWORD
	v_fma_f16 v142, v142, v27, -v185
	v_sub_f16_e32 v27, v173, v175
	v_sub_f16_e32 v185, v183, v181
	v_add_f16_e32 v27, v27, v185
	v_sub_f16_e32 v185, v154, v174
	v_sub_f16_e32 v186, v182, v179
	v_add_f16_e32 v185, v185, v186
	;; [unrolled: 3-line block ×4, first 2 shown]
	v_add_f16_e32 v186, v177, v180
	v_fma_f16 v192, v186, -0.5, v152
	v_sub_f16_e32 v193, v153, v142
	v_fma_f16 v186, v193, s13, v192
	v_sub_f16_e32 v194, v176, v178
	v_fma_f16 v186, v194, s14, v186
	v_fma_f16 v188, v190, s7, v186
	v_add_f16_e32 v186, v176, v178
	v_fma_f16 v195, v186, -0.5, v151
	v_sub_f16_e32 v196, v156, v184
	v_fma_f16 v186, v196, s12, v195
	v_sub_f16_e32 v197, v177, v180
	v_fma_f16 v186, v197, s6, v186
	v_fma_f16 v189, v191, s7, v186
	ds_read2_b32 v[186:187], v134 offset1:90
	v_mul_f16_e32 v198, 0xb8b4, v189
	v_mul_f16_e32 v189, 0x3a79, v189
	v_fma_f16 v198, v188, s15, v198
	v_fma_f16 v199, v188, s6, v189
	s_waitcnt lgkmcnt(0)
	v_add_f16_e32 v188, v186, v173
	v_add_f16_e32 v188, v188, v175
	;; [unrolled: 1-line block ×3, first 2 shown]
	v_lshrrev_b32_e32 v201, 16, v186
	v_add_f16_e32 v200, v188, v183
	v_add_f16_e32 v188, v201, v154
	;; [unrolled: 1-line block ×15, first 2 shown]
	v_pack_b32_f16 v205, v188, v189
	v_add_f16_e32 v188, v175, v181
	v_sub_f16_e32 v211, v173, v183
	v_sub_f16_e32 v212, v175, v181
	;; [unrolled: 1-line block ×3, first 2 shown]
	v_add_f16_e32 v173, v173, v183
	v_sub_f16_e32 v208, v174, v179
	v_sub_f16_e32 v181, v181, v183
	v_fma_f16 v173, v173, -0.5, v186
	v_fma_f16 v206, v188, -0.5, v186
	v_sub_f16_e32 v207, v154, v182
	v_add_f16_e32 v175, v175, v181
	v_fma_f16 v181, v208, s12, v173
	v_fma_f16 v173, v208, s13, v173
	;; [unrolled: 1-line block ×8, first 2 shown]
	v_add_f16_e32 v175, v154, v182
	v_fma_f16 v209, v27, s7, v188
	v_add_f16_e32 v188, v174, v179
	v_fma_f16 v175, v175, -0.5, v201
	v_sub_f16_e32 v154, v174, v154
	v_sub_f16_e32 v174, v179, v182
	v_add_f16_e32 v154, v154, v174
	v_fma_f16 v174, v212, s13, v175
	v_fma_f16 v175, v212, s12, v175
	v_fma_f16 v174, v211, s6, v174
	v_fma_f16 v175, v211, s14, v175
	v_fma_f16 v174, v154, s7, v174
	v_fma_f16 v154, v154, s7, v175
	v_add_f16_e32 v175, v156, v184
	v_fma_f16 v152, v175, -0.5, v152
	v_sub_f16_e32 v156, v177, v156
	v_sub_f16_e32 v175, v180, v184
	v_add_f16_e32 v156, v156, v175
	v_fma_f16 v175, v194, s12, v152
	v_fma_f16 v152, v194, s13, v152
	v_fma_f16 v175, v193, s14, v175
	v_fma_f16 v152, v193, s6, v152
	v_fma_f16 v175, v156, s7, v175
	;; [unrolled: 11-line block ×3, first 2 shown]
	v_fma_f16 v210, v188, -0.5, v201
	v_fma_f16 v142, v142, s7, v151
	v_mul_f16_e32 v151, 0xbb9c, v153
	v_mul_f16_e32 v153, 0x34f2, v153
	v_fma_f16 v188, v211, s12, v210
	v_fma_f16 v151, v175, s7, v151
	;; [unrolled: 1-line block ×3, first 2 shown]
	v_mul_f16_e32 v156, 0xbb9c, v142
	v_mul_f16_e32 v142, 0xb4f2, v142
	v_fma_f16 v188, v212, s6, v188
	v_fma_f16 v156, v152, s2, v156
	;; [unrolled: 1-line block ×3, first 2 shown]
	v_add_f16_e32 v152, v181, v151
	v_add_f16_e32 v175, v174, v153
	v_fma_f16 v213, v185, s7, v188
	v_pack_b32_f16 v152, v152, v175
	v_add_f16_e32 v175, v173, v156
	v_add_f16_e32 v176, v154, v142
	;; [unrolled: 1-line block ×4, first 2 shown]
	v_pack_b32_f16 v175, v175, v176
	v_pack_b32_f16 v214, v188, v189
	ds_read2_b32 v[188:189], v101 offset0:88 offset1:178
	s_waitcnt lgkmcnt(0)
	s_barrier
	ds_write2_b32 v147, v152, v175 offset0:6 offset1:9
	v_fma_f16 v152, v207, s12, v206
	v_fma_f16 v176, v196, s13, v195
	;; [unrolled: 1-line block ×11, first 2 shown]
	v_mul_f16_e32 v177, 0xb8b4, v176
	v_mul_f16_e32 v176, 0xba79, v176
	v_fma_f16 v152, v185, s7, v152
	v_fma_f16 v177, v175, s3, v177
	;; [unrolled: 1-line block ×3, first 2 shown]
	v_sub_f16_e32 v176, v200, v203
	v_sub_f16_e32 v178, v202, v204
	v_add_f16_e32 v179, v27, v177
	v_add_f16_e32 v180, v152, v175
	v_pack_b32_f16 v179, v179, v180
	v_pack_b32_f16 v176, v176, v178
	ds_write2_b32 v147, v179, v176 offset0:12 offset1:15
	v_sub_f16_e32 v176, v209, v198
	v_sub_f16_e32 v151, v181, v151
	;; [unrolled: 1-line block ×4, first 2 shown]
	v_pack_b32_f16 v174, v176, v178
	v_pack_b32_f16 v151, v151, v153
	ds_write2_b32 v147, v174, v151 offset0:18 offset1:21
	v_sub_f16_e32 v151, v173, v156
	v_sub_f16_e32 v27, v27, v177
	;; [unrolled: 1-line block ×4, first 2 shown]
	v_pack_b32_f16 v142, v151, v142
	v_pack_b32_f16 v27, v27, v152
	ds_write2_b32 v147, v142, v27 offset0:24 offset1:27
	v_lshrrev_b32_e32 v27, 16, v188
	v_mul_f16_sdwa v142, v155, v188 dst_sel:DWORD dst_unused:UNUSED_PAD src0_sel:WORD_1 src1_sel:DWORD
	v_fma_f16 v142, v155, v27, -v142
	v_mul_f16_sdwa v27, v155, v27 dst_sel:DWORD dst_unused:UNUSED_PAD src0_sel:WORD_1 src1_sel:DWORD
	v_fma_f16 v27, v155, v188, v27
	v_sub_f16_e32 v154, v144, v150
	v_sub_f16_e32 v155, v172, v33
	v_add_f16_e32 v154, v154, v155
	v_sub_f16_e32 v155, v54, v146
	v_sub_f16_e32 v156, v35, v32
	v_add_f16_e32 v155, v155, v156
	;; [unrolled: 3-line block ×4, first 2 shown]
	v_add_f16_e32 v173, v173, v174
	v_add_f16_e32 v174, v34, v30
	v_fma_f16 v178, v178, -0.5, v140
	v_sub_f16_e32 v179, v148, v27
	v_fma_f16 v174, v174, -0.5, v145
	v_sub_f16_e32 v175, v141, v142
	v_fma_f16 v180, v179, s12, v178
	v_sub_f16_e32 v181, v34, v30
	v_fma_f16 v176, v175, s13, v174
	;; [unrolled: 2-line block ×3, first 2 shown]
	v_fma_f16 v176, v177, s14, v176
	v_fma_f16 v180, v173, s7, v180
	v_lshrrev_b32_e32 v152, 16, v187
	v_fma_f16 v176, v156, s7, v176
	v_mul_f16_e32 v182, 0xb8b4, v180
	v_mul_f16_e32 v180, 0x3a79, v180
	v_add_f16_e32 v153, v187, v144
	v_fma_f16 v182, v176, s15, v182
	v_fma_f16 v176, v176, s6, v180
	v_add_f16_e32 v180, v152, v54
	v_add_f16_e32 v183, v145, v148
	;; [unrolled: 1-line block ×16, first 2 shown]
	ds_write2_b32 v147, v205, v214 offset1:3
	v_add_f16_e32 v147, v150, v33
	v_fma_f16 v151, v151, -0.5, v187
	v_add_f16_e32 v185, v153, v183
	v_add_f16_e32 v186, v180, v184
	v_sub_f16_e32 v188, v146, v32
	v_sub_f16_e32 v191, v144, v172
	v_sub_f16_e32 v193, v150, v33
	v_sub_f16_e32 v144, v150, v144
	v_sub_f16_e32 v33, v33, v172
	v_pack_b32_f16 v185, v185, v186
	v_sub_f16_e32 v186, v54, v35
	v_add_f16_e32 v33, v144, v33
	v_fma_f16 v144, v188, s12, v151
	v_fma_f16 v150, v188, s13, v151
	;; [unrolled: 1-line block ×6, first 2 shown]
	v_add_f16_e32 v150, v54, v35
	v_add_f16_e32 v190, v146, v32
	v_fma_f16 v150, v150, -0.5, v152
	v_sub_f16_e32 v54, v146, v54
	v_sub_f16_e32 v32, v32, v35
	v_add_f16_e32 v32, v54, v32
	v_fma_f16 v35, v193, s13, v150
	v_fma_f16 v54, v193, s12, v150
	v_fma_f16 v35, v191, s6, v35
	v_fma_f16 v54, v191, s14, v54
	v_fma_f16 v35, v32, s7, v35
	v_fma_f16 v32, v32, s7, v54
	v_add_f16_e32 v54, v148, v27
	v_fma_f16 v54, v54, -0.5, v145
	v_sub_f16_e32 v34, v34, v148
	v_sub_f16_e32 v27, v30, v27
	v_add_f16_e32 v27, v34, v27
	v_fma_f16 v30, v177, s12, v54
	v_fma_f16 v34, v177, s13, v54
	v_fma_f16 v30, v175, s14, v30
	v_fma_f16 v34, v175, s6, v34
	v_fma_f16 v30, v27, s7, v30
	v_fma_f16 v27, v27, s7, v34
	;; [unrolled: 11-line block ×3, first 2 shown]
	v_mul_f16_e32 v34, 0xbb9c, v31
	v_mul_f16_e32 v31, 0x34f2, v31
	v_fma_f16 v34, v30, s7, v34
	v_fma_f16 v30, v30, s12, v31
	v_mul_f16_e32 v31, 0xbb9c, v29
	v_mul_f16_e32 v29, 0xb4f2, v29
	v_fma_f16 v31, v27, s2, v31
	v_fma_f16 v27, v27, s12, v29
	v_add_f16_e32 v29, v144, v34
	v_add_f16_e32 v54, v35, v30
	v_pack_b32_f16 v29, v29, v54
	v_add_f16_e32 v54, v33, v31
	v_add_f16_e32 v140, v32, v27
	v_fma_f16 v141, v179, s13, v178
	v_fma_f16 v147, v147, -0.5, v187
	v_fma_f16 v190, v190, -0.5, v152
	v_pack_b32_f16 v54, v54, v140
	v_fma_f16 v140, v175, s12, v174
	v_fma_f16 v141, v181, s14, v141
	ds_write2_b32 v158, v29, v54 offset0:6 offset1:9
	v_fma_f16 v29, v186, s12, v147
	v_fma_f16 v54, v191, s13, v190
	;; [unrolled: 1-line block ×7, first 2 shown]
	v_mul_f16_e32 v142, 0xb8b4, v141
	v_mul_f16_e32 v141, 0xba79, v141
	v_fma_f16 v187, v186, s13, v147
	v_fma_f16 v192, v191, s12, v190
	;; [unrolled: 1-line block ×8, first 2 shown]
	v_sub_f16_e32 v141, v153, v183
	v_sub_f16_e32 v145, v180, v184
	v_add_f16_e32 v146, v29, v142
	v_add_f16_e32 v147, v54, v140
	v_fma_f16 v187, v154, s7, v187
	v_fma_f16 v192, v155, s7, v192
	v_pack_b32_f16 v146, v146, v147
	v_pack_b32_f16 v141, v141, v145
	ds_write2_b32 v158, v146, v141 offset0:12 offset1:15
	v_sub_f16_e32 v141, v187, v182
	v_sub_f16_e32 v34, v144, v34
	;; [unrolled: 1-line block ×4, first 2 shown]
	v_pack_b32_f16 v35, v141, v144
	v_pack_b32_f16 v30, v34, v30
	ds_write2_b32 v158, v35, v30 offset0:18 offset1:21
	v_sub_f16_e32 v30, v33, v31
	v_sub_f16_e32 v29, v29, v142
	;; [unrolled: 1-line block ×4, first 2 shown]
	v_pack_b32_f16 v27, v30, v27
	v_pack_b32_f16 v29, v29, v31
	ds_write2_b32 v158, v27, v29 offset0:24 offset1:27
	v_lshrrev_b32_e32 v27, 16, v189
	v_mul_f16_sdwa v30, v143, v189 dst_sel:DWORD dst_unused:UNUSED_PAD src0_sel:WORD_1 src1_sel:DWORD
	v_mul_f16_sdwa v29, v143, v27 dst_sel:DWORD dst_unused:UNUSED_PAD src0_sel:WORD_1 src1_sel:DWORD
	v_fma_f16 v27, v143, v27, -v30
	v_add_f16_e32 v30, v19, v28
	v_add_f16_e32 v31, v17, v26
	v_sub_f16_e32 v34, v17, v19
	v_sub_f16_e32 v35, v26, v28
	v_fma_f16 v29, v143, v189, v29
	v_fma_f16 v30, v30, -0.5, v53
	v_fma_f16 v31, v31, -0.5, v53
	v_lshrrev_b32_e32 v32, 16, v53
	v_add_f16_e32 v33, v53, v17
	v_add_f16_e32 v34, v34, v35
	v_sub_f16_e32 v35, v16, v18
	v_sub_f16_e32 v53, v25, v24
	v_add_f16_e32 v35, v35, v53
	v_sub_f16_e32 v53, v7, v1
	v_sub_f16_e32 v54, v29, v3
	;; [unrolled: 3-line block ×3, first 2 shown]
	v_add_f16_e32 v144, v0, v2
	v_add_f16_e32 v54, v54, v140
	;; [unrolled: 1-line block ×3, first 2 shown]
	v_fma_f16 v144, v144, -0.5, v4
	v_sub_f16_e32 v145, v7, v29
	v_fma_f16 v140, v140, -0.5, v5
	v_sub_f16_e32 v141, v6, v27
	v_fma_f16 v146, v145, s12, v144
	v_sub_f16_e32 v147, v1, v3
	v_fma_f16 v142, v141, s13, v140
	;; [unrolled: 2-line block ×3, first 2 shown]
	v_fma_f16 v142, v143, s14, v142
	v_fma_f16 v146, v54, s7, v146
	;; [unrolled: 1-line block ×3, first 2 shown]
	v_mul_f16_e32 v148, 0xb8b4, v146
	v_mul_f16_e32 v146, 0x3a79, v146
	v_fma_f16 v148, v142, s15, v148
	v_fma_f16 v142, v142, s6, v146
	v_add_f16_e32 v146, v32, v16
	v_add_f16_e32 v150, v5, v7
	v_add_f16_e32 v151, v4, v6
	v_add_f16_e32 v33, v33, v19
	v_add_f16_e32 v146, v146, v18
	v_add_f16_e32 v150, v150, v1
	v_add_f16_e32 v151, v151, v0
	v_add_f16_e32 v194, v187, v182
	v_add_f16_e32 v195, v192, v176
	v_add_f16_e32 v33, v33, v28
	v_add_f16_e32 v146, v146, v24
	v_add_f16_e32 v150, v150, v3
	v_add_f16_e32 v151, v151, v2
	v_pack_b32_f16 v194, v194, v195
	v_add_f16_e32 v33, v33, v26
	v_add_f16_e32 v146, v146, v25
	;; [unrolled: 1-line block ×4, first 2 shown]
	ds_write2_b32 v158, v185, v194 offset1:3
	v_add_f16_e32 v152, v33, v150
	v_add_f16_e32 v153, v146, v151
	v_sub_f16_e32 v155, v18, v24
	v_sub_f16_e32 v158, v17, v26
	;; [unrolled: 1-line block ×5, first 2 shown]
	v_pack_b32_f16 v152, v152, v153
	v_sub_f16_e32 v153, v16, v25
	v_add_f16_e32 v17, v17, v19
	v_fma_f16 v19, v155, s12, v31
	v_fma_f16 v26, v155, s13, v31
	v_fma_f16 v19, v153, s14, v19
	v_fma_f16 v26, v153, s6, v26
	v_fma_f16 v19, v17, s7, v19
	v_fma_f16 v17, v17, s7, v26
	v_add_f16_e32 v26, v16, v25
	v_add_f16_e32 v156, v18, v24
	v_fma_f16 v26, v26, -0.5, v32
	v_sub_f16_e32 v16, v18, v16
	v_sub_f16_e32 v18, v24, v25
	v_add_f16_e32 v16, v16, v18
	v_fma_f16 v18, v173, s13, v26
	v_fma_f16 v24, v173, s12, v26
	v_fma_f16 v18, v158, s6, v18
	v_fma_f16 v24, v158, s14, v24
	v_fma_f16 v18, v16, s7, v18
	v_fma_f16 v16, v16, s7, v24
	v_add_f16_e32 v24, v7, v29
	v_fma_f16 v5, v24, -0.5, v5
	v_sub_f16_e32 v1, v1, v7
	v_sub_f16_e32 v3, v3, v29
	v_add_f16_e32 v1, v1, v3
	v_fma_f16 v3, v143, s12, v5
	v_fma_f16 v5, v143, s13, v5
	v_fma_f16 v3, v141, s14, v3
	v_fma_f16 v5, v141, s6, v5
	v_fma_f16 v3, v1, s7, v3
	v_fma_f16 v1, v1, s7, v5
	;; [unrolled: 11-line block ×3, first 2 shown]
	v_mul_f16_e32 v4, 0xbb9c, v2
	v_mul_f16_e32 v2, 0x34f2, v2
	v_fma_f16 v4, v3, s7, v4
	v_fma_f16 v2, v3, s12, v2
	v_mul_f16_e32 v3, 0xbb9c, v0
	v_mul_f16_e32 v0, 0xb4f2, v0
	v_fma_f16 v3, v1, s2, v3
	v_fma_f16 v0, v1, s12, v0
	v_add_f16_e32 v1, v19, v4
	v_add_f16_e32 v5, v18, v2
	v_pack_b32_f16 v1, v1, v5
	v_add_f16_e32 v5, v17, v3
	v_add_f16_e32 v6, v16, v0
	v_fma_f16 v7, v145, s13, v144
	v_fma_f16 v156, v156, -0.5, v32
	v_pack_b32_f16 v5, v5, v6
	v_fma_f16 v6, v141, s12, v140
	v_fma_f16 v7, v147, s14, v7
	ds_write2_b32 v160, v1, v5 offset0:6 offset1:9
	v_fma_f16 v1, v153, s12, v30
	v_fma_f16 v5, v158, s13, v156
	;; [unrolled: 1-line block ×7, first 2 shown]
	v_mul_f16_e32 v24, 0xb8b4, v7
	v_mul_f16_e32 v7, 0xba79, v7
	v_fma_f16 v154, v153, s13, v30
	v_fma_f16 v172, v158, s12, v156
	;; [unrolled: 1-line block ×8, first 2 shown]
	v_sub_f16_e32 v7, v33, v150
	v_sub_f16_e32 v25, v146, v151
	v_add_f16_e32 v26, v1, v24
	v_add_f16_e32 v27, v5, v6
	v_fma_f16 v154, v34, s7, v154
	v_fma_f16 v172, v35, s7, v172
	v_pack_b32_f16 v26, v26, v27
	v_pack_b32_f16 v7, v7, v25
	ds_write2_b32 v160, v26, v7 offset0:12 offset1:15
	v_sub_f16_e32 v7, v154, v148
	v_sub_f16_e32 v4, v19, v4
	;; [unrolled: 1-line block ×4, first 2 shown]
	v_pack_b32_f16 v7, v7, v19
	v_pack_b32_f16 v2, v4, v2
	v_add_f16_e32 v174, v154, v148
	v_add_f16_e32 v175, v172, v142
	ds_write2_b32 v160, v7, v2 offset0:18 offset1:21
	v_sub_f16_e32 v2, v17, v3
	v_sub_f16_e32 v1, v1, v24
	;; [unrolled: 1-line block ×4, first 2 shown]
	v_pack_b32_f16 v174, v174, v175
	v_pack_b32_f16 v0, v2, v0
	;; [unrolled: 1-line block ×3, first 2 shown]
	ds_write2_b32 v160, v152, v174 offset1:3
	ds_write2_b32 v160, v0, v1 offset0:24 offset1:27
	s_waitcnt lgkmcnt(0)
	s_barrier
	ds_read2_b32 v[0:1], v132 offset0:52 offset1:142
	ds_read2_b32 v[2:3], v111 offset0:28 offset1:118
	ds_read2_b32 v[145:146], v135 offset0:8 offset1:98
	s_waitcnt lgkmcnt(2)
	v_lshrrev_b32_e32 v4, 16, v1
	v_mul_f16_sdwa v5, v12, v1 dst_sel:DWORD dst_unused:UNUSED_PAD src0_sel:WORD_1 src1_sel:DWORD
	v_fma_f16 v25, v12, v4, -v5
	v_mul_f16_sdwa v4, v12, v4 dst_sel:DWORD dst_unused:UNUSED_PAD src0_sel:WORD_1 src1_sel:DWORD
	v_fma_f16 v26, v12, v1, v4
	s_waitcnt lgkmcnt(1)
	v_lshrrev_b32_e32 v1, 16, v2
	ds_read2_b32 v[4:5], v100 offset0:80 offset1:170
	v_mul_f16_sdwa v6, v13, v2 dst_sel:DWORD dst_unused:UNUSED_PAD src0_sel:WORD_1 src1_sel:DWORD
	v_fma_f16 v31, v13, v1, -v6
	v_mul_f16_sdwa v1, v13, v1 dst_sel:DWORD dst_unused:UNUSED_PAD src0_sel:WORD_1 src1_sel:DWORD
	v_fma_f16 v53, v13, v2, v1
	ds_read2_b32 v[1:2], v128 offset0:56 offset1:146
	s_waitcnt lgkmcnt(1)
	v_lshrrev_b32_e32 v6, 16, v5
	v_mul_f16_sdwa v7, v14, v5 dst_sel:DWORD dst_unused:UNUSED_PAD src0_sel:WORD_1 src1_sel:DWORD
	v_fma_f16 v27, v14, v6, -v7
	v_mul_f16_sdwa v6, v14, v6 dst_sel:DWORD dst_unused:UNUSED_PAD src0_sel:WORD_1 src1_sel:DWORD
	v_fma_f16 v32, v14, v5, v6
	s_waitcnt lgkmcnt(0)
	v_lshrrev_b32_e32 v5, 16, v1
	v_mul_f16_sdwa v6, v15, v1 dst_sel:DWORD dst_unused:UNUSED_PAD src0_sel:WORD_1 src1_sel:DWORD
	v_fma_f16 v54, v15, v5, -v6
	v_mul_f16_sdwa v5, v15, v5 dst_sel:DWORD dst_unused:UNUSED_PAD src0_sel:WORD_1 src1_sel:DWORD
	v_fma_f16 v140, v15, v1, v5
	v_lshrrev_b32_e32 v1, 16, v3
	v_mul_f16_sdwa v5, v21, v1 dst_sel:DWORD dst_unused:UNUSED_PAD src0_sel:WORD_1 src1_sel:DWORD
	v_fma_f16 v19, v21, v3, v5
	v_mul_f16_sdwa v3, v21, v3 dst_sel:DWORD dst_unused:UNUSED_PAD src0_sel:WORD_1 src1_sel:DWORD
	v_fma_f16 v16, v21, v1, -v3
	v_lshrrev_b32_e32 v1, 16, v2
	ds_read2_b32 v[5:6], v118 offset0:104 offset1:194
	v_mul_f16_sdwa v3, v23, v1 dst_sel:DWORD dst_unused:UNUSED_PAD src0_sel:WORD_1 src1_sel:DWORD
	v_fma_f16 v24, v23, v2, v3
	v_mul_f16_sdwa v2, v23, v2 dst_sel:DWORD dst_unused:UNUSED_PAD src0_sel:WORD_1 src1_sel:DWORD
	v_fma_f16 v23, v23, v1, -v2
	ds_read2_b32 v[2:3], v136 offset0:132 offset1:222
	s_waitcnt lgkmcnt(1)
	v_lshrrev_b32_e32 v1, 16, v5
	v_mul_f16_sdwa v7, v20, v5 dst_sel:DWORD dst_unused:UNUSED_PAD src0_sel:WORD_1 src1_sel:DWORD
	v_fma_f16 v17, v20, v1, -v7
	v_mul_f16_sdwa v1, v20, v1 dst_sel:DWORD dst_unused:UNUSED_PAD src0_sel:WORD_1 src1_sel:DWORD
	v_fma_f16 v21, v20, v5, v1
	s_waitcnt lgkmcnt(0)
	v_lshrrev_b32_e32 v1, 16, v2
	v_mul_f16_sdwa v5, v22, v2 dst_sel:DWORD dst_unused:UNUSED_PAD src0_sel:WORD_1 src1_sel:DWORD
	v_fma_f16 v18, v22, v1, -v5
	v_mul_f16_sdwa v1, v22, v1 dst_sel:DWORD dst_unused:UNUSED_PAD src0_sel:WORD_1 src1_sel:DWORD
	v_fma_f16 v22, v22, v2, v1
	v_lshrrev_b32_e32 v1, 16, v6
	v_mul_f16_sdwa v5, v44, v6 dst_sel:DWORD dst_unused:UNUSED_PAD src0_sel:WORD_1 src1_sel:DWORD
	v_mul_f16_sdwa v2, v44, v1 dst_sel:DWORD dst_unused:UNUSED_PAD src0_sel:WORD_1 src1_sel:DWORD
	v_fma_f16 v1, v44, v1, -v5
	v_lshrrev_b32_e32 v5, 16, v4
	ds_read2_b32 v[12:13], v121 offset0:108 offset1:198
	v_fma_f16 v2, v44, v6, v2
	v_mul_f16_sdwa v6, v45, v5 dst_sel:DWORD dst_unused:UNUSED_PAD src0_sel:WORD_1 src1_sel:DWORD
	v_fma_f16 v6, v45, v4, v6
	v_mul_f16_sdwa v4, v45, v4 dst_sel:DWORD dst_unused:UNUSED_PAD src0_sel:WORD_1 src1_sel:DWORD
	v_lshrrev_b32_e32 v7, 16, v3
	v_fma_f16 v5, v45, v5, -v4
	v_mul_f16_sdwa v4, v46, v7 dst_sel:DWORD dst_unused:UNUSED_PAD src0_sel:WORD_1 src1_sel:DWORD
	v_fma_f16 v4, v46, v3, v4
	v_mul_f16_sdwa v3, v46, v3 dst_sel:DWORD dst_unused:UNUSED_PAD src0_sel:WORD_1 src1_sel:DWORD
	v_fma_f16 v3, v46, v7, -v3
	s_waitcnt lgkmcnt(0)
	v_lshrrev_b32_e32 v14, 16, v12
	v_mul_f16_sdwa v7, v47, v12 dst_sel:DWORD dst_unused:UNUSED_PAD src0_sel:WORD_1 src1_sel:DWORD
	v_fma_f16 v7, v47, v14, -v7
	v_mul_f16_sdwa v14, v47, v14 dst_sel:DWORD dst_unused:UNUSED_PAD src0_sel:WORD_1 src1_sel:DWORD
	v_fma_f16 v12, v47, v12, v14
	ds_read2_b32 v[14:15], v102 offset0:84 offset1:174
	v_lshrrev_b32_e32 v20, 16, v13
	v_mul_f16_sdwa v28, v8, v20 dst_sel:DWORD dst_unused:UNUSED_PAD src0_sel:WORD_1 src1_sel:DWORD
	v_fma_f16 v45, v8, v13, v28
	v_mul_f16_sdwa v13, v8, v13 dst_sel:DWORD dst_unused:UNUSED_PAD src0_sel:WORD_1 src1_sel:DWORD
	v_fma_f16 v44, v8, v20, -v13
	s_waitcnt lgkmcnt(0)
	v_lshrrev_b32_e32 v8, 16, v14
	v_mul_f16_sdwa v13, v9, v14 dst_sel:DWORD dst_unused:UNUSED_PAD src0_sel:WORD_1 src1_sel:DWORD
	v_fma_f16 v47, v9, v8, -v13
	v_mul_f16_sdwa v8, v9, v8 dst_sel:DWORD dst_unused:UNUSED_PAD src0_sel:WORD_1 src1_sel:DWORD
	v_fma_f16 v142, v9, v14, v8
	ds_read2_b32 v[8:9], v115 offset0:112 offset1:202
	v_lshrrev_b32_e32 v13, 16, v146
	v_mul_f16_sdwa v14, v10, v146 dst_sel:DWORD dst_unused:UNUSED_PAD src0_sel:WORD_1 src1_sel:DWORD
	v_fma_f16 v46, v10, v13, -v14
	v_mul_f16_sdwa v13, v10, v13 dst_sel:DWORD dst_unused:UNUSED_PAD src0_sel:WORD_1 src1_sel:DWORD
	v_fma_f16 v141, v10, v146, v13
	s_waitcnt lgkmcnt(0)
	v_lshrrev_b32_e32 v10, 16, v8
	v_mul_f16_sdwa v13, v11, v8 dst_sel:DWORD dst_unused:UNUSED_PAD src0_sel:WORD_1 src1_sel:DWORD
	v_fma_f16 v143, v11, v10, -v13
	v_mul_f16_sdwa v10, v11, v10 dst_sel:DWORD dst_unused:UNUSED_PAD src0_sel:WORD_1 src1_sel:DWORD
	v_fma_f16 v144, v11, v8, v10
	v_lshrrev_b32_e32 v8, 16, v15
	v_mul_f16_sdwa v10, v41, v8 dst_sel:DWORD dst_unused:UNUSED_PAD src0_sel:WORD_1 src1_sel:DWORD
	v_fma_f16 v33, v41, v15, v10
	v_mul_f16_sdwa v10, v41, v15 dst_sel:DWORD dst_unused:UNUSED_PAD src0_sel:WORD_1 src1_sel:DWORD
	v_fma_f16 v29, v41, v8, -v10
	ds_read2_b32 v[10:11], v108 offset0:160 offset1:250
	v_lshrrev_b32_e32 v8, 16, v9
	ds_read2_b32 v[14:15], v131 offset0:60 offset1:150
	v_mul_f16_sdwa v13, v43, v8 dst_sel:DWORD dst_unused:UNUSED_PAD src0_sel:WORD_1 src1_sel:DWORD
	v_fma_f16 v41, v43, v9, v13
	v_mul_f16_sdwa v9, v43, v9 dst_sel:DWORD dst_unused:UNUSED_PAD src0_sel:WORD_1 src1_sel:DWORD
	v_fma_f16 v35, v43, v8, -v9
	s_waitcnt lgkmcnt(1)
	v_lshrrev_b32_e32 v8, 16, v10
	v_mul_f16_sdwa v9, v40, v10 dst_sel:DWORD dst_unused:UNUSED_PAD src0_sel:WORD_1 src1_sel:DWORD
	v_fma_f16 v28, v40, v8, -v9
	v_mul_f16_sdwa v8, v40, v8 dst_sel:DWORD dst_unused:UNUSED_PAD src0_sel:WORD_1 src1_sel:DWORD
	v_fma_f16 v34, v40, v10, v8
	s_waitcnt lgkmcnt(0)
	v_lshrrev_b32_e32 v8, 16, v14
	v_mul_f16_sdwa v9, v42, v14 dst_sel:DWORD dst_unused:UNUSED_PAD src0_sel:WORD_1 src1_sel:DWORD
	v_fma_f16 v30, v42, v8, -v9
	v_mul_f16_sdwa v8, v42, v8 dst_sel:DWORD dst_unused:UNUSED_PAD src0_sel:WORD_1 src1_sel:DWORD
	v_fma_f16 v40, v42, v14, v8
	v_lshrrev_b32_e32 v8, 16, v11
	v_mul_f16_sdwa v10, v36, v11 dst_sel:DWORD dst_unused:UNUSED_PAD src0_sel:WORD_1 src1_sel:DWORD
	v_mul_f16_sdwa v9, v36, v8 dst_sel:DWORD dst_unused:UNUSED_PAD src0_sel:WORD_1 src1_sel:DWORD
	v_fma_f16 v8, v36, v8, -v10
	v_lshrrev_b32_e32 v10, 16, v145
	v_fma_f16 v9, v36, v11, v9
	v_mul_f16_sdwa v11, v37, v10 dst_sel:DWORD dst_unused:UNUSED_PAD src0_sel:WORD_1 src1_sel:DWORD
	v_fma_f16 v14, v37, v145, v11
	v_mul_f16_sdwa v11, v37, v145 dst_sel:DWORD dst_unused:UNUSED_PAD src0_sel:WORD_1 src1_sel:DWORD
	v_fma_f16 v13, v37, v10, -v11
	ds_read2_b32 v[36:37], v106 offset0:36 offset1:126
	v_lshrrev_b32_e32 v10, 16, v15
	v_mul_f16_sdwa v11, v38, v10 dst_sel:DWORD dst_unused:UNUSED_PAD src0_sel:WORD_1 src1_sel:DWORD
	v_fma_f16 v11, v38, v15, v11
	v_mul_f16_sdwa v15, v38, v15 dst_sel:DWORD dst_unused:UNUSED_PAD src0_sel:WORD_1 src1_sel:DWORD
	v_fma_f16 v10, v38, v10, -v15
	s_waitcnt lgkmcnt(0)
	v_lshrrev_b32_e32 v20, 16, v36
	v_mul_f16_sdwa v15, v39, v36 dst_sel:DWORD dst_unused:UNUSED_PAD src0_sel:WORD_1 src1_sel:DWORD
	v_fma_f16 v15, v39, v20, -v15
	v_mul_f16_sdwa v20, v39, v20 dst_sel:DWORD dst_unused:UNUSED_PAD src0_sel:WORD_1 src1_sel:DWORD
	v_fma_f16 v20, v39, v36, v20
	v_lshrrev_b32_e32 v36, 16, v37
	v_mul_f16_sdwa v38, v157, v36 dst_sel:DWORD dst_unused:UNUSED_PAD src0_sel:WORD_1 src1_sel:DWORD
	v_fma_f16 v38, v157, v37, v38
	v_mul_f16_sdwa v37, v157, v37 dst_sel:DWORD dst_unused:UNUSED_PAD src0_sel:WORD_1 src1_sel:DWORD
	v_fma_f16 v37, v157, v36, -v37
	v_sub_f16_e32 v36, v53, v140
	v_sub_f16_e32 v39, v144, v142
	v_add_f16_e32 v36, v36, v39
	v_sub_f16_e32 v39, v31, v54
	v_sub_f16_e32 v42, v143, v47
	v_add_f16_e32 v39, v39, v42
	;; [unrolled: 3-line block ×4, first 2 shown]
	v_add_f16_e32 v42, v45, v141
	v_fma_f16 v150, v42, -0.5, v26
	v_sub_f16_e32 v151, v27, v37
	v_fma_f16 v42, v151, s13, v150
	v_sub_f16_e32 v152, v44, v46
	v_fma_f16 v42, v152, s14, v42
	v_fma_f16 v145, v147, s7, v42
	v_add_f16_e32 v42, v44, v46
	v_fma_f16 v153, v42, -0.5, v25
	v_sub_f16_e32 v154, v32, v38
	v_fma_f16 v42, v154, s12, v153
	v_sub_f16_e32 v155, v45, v141
	v_fma_f16 v42, v155, s6, v42
	v_fma_f16 v146, v148, s7, v42
	ds_read2_b32 v[42:43], v134 offset1:90
	v_mul_f16_e32 v156, 0xb8b4, v146
	v_mul_f16_e32 v146, 0x3a79, v146
	v_fma_f16 v156, v145, s15, v156
	v_fma_f16 v157, v145, s6, v146
	s_waitcnt lgkmcnt(0)
	v_add_f16_e32 v145, v42, v53
	v_add_f16_e32 v145, v145, v140
	;; [unrolled: 1-line block ×3, first 2 shown]
	v_lshrrev_b32_e32 v160, 16, v42
	v_add_f16_e32 v158, v145, v144
	v_add_f16_e32 v145, v160, v31
	;; [unrolled: 1-line block ×15, first 2 shown]
	v_pack_b32_f16 v175, v145, v146
	v_add_f16_e32 v145, v140, v142
	v_sub_f16_e32 v181, v53, v144
	v_sub_f16_e32 v182, v140, v142
	;; [unrolled: 1-line block ×3, first 2 shown]
	v_add_f16_e32 v53, v53, v144
	v_fma_f16 v176, v145, -0.5, v42
	v_sub_f16_e32 v178, v54, v47
	v_fma_f16 v42, v53, -0.5, v42
	v_sub_f16_e32 v177, v31, v143
	v_sub_f16_e32 v142, v142, v144
	v_fma_f16 v53, v178, s12, v42
	v_fma_f16 v42, v178, s13, v42
	v_fma_f16 v145, v177, s13, v176
	v_add_f16_e32 v140, v140, v142
	v_fma_f16 v53, v177, s14, v53
	v_fma_f16 v42, v177, s6, v42
	;; [unrolled: 1-line block ×5, first 2 shown]
	v_add_f16_e32 v140, v31, v143
	v_fma_f16 v179, v36, s7, v145
	v_add_f16_e32 v145, v54, v47
	v_fma_f16 v140, v140, -0.5, v160
	v_sub_f16_e32 v31, v54, v31
	v_sub_f16_e32 v47, v47, v143
	v_add_f16_e32 v31, v31, v47
	v_fma_f16 v47, v182, s13, v140
	v_fma_f16 v54, v182, s12, v140
	v_fma_f16 v47, v181, s6, v47
	v_fma_f16 v54, v181, s14, v54
	v_fma_f16 v47, v31, s7, v47
	v_fma_f16 v31, v31, s7, v54
	v_add_f16_e32 v54, v32, v38
	v_fma_f16 v26, v54, -0.5, v26
	v_sub_f16_e32 v32, v45, v32
	v_sub_f16_e32 v38, v141, v38
	v_add_f16_e32 v32, v32, v38
	v_fma_f16 v38, v152, s12, v26
	v_fma_f16 v26, v152, s13, v26
	v_fma_f16 v38, v151, s14, v38
	v_fma_f16 v26, v151, s6, v26
	v_fma_f16 v38, v32, s7, v38
	;; [unrolled: 11-line block ×3, first 2 shown]
	v_fma_f16 v180, v145, -0.5, v160
	v_fma_f16 v25, v27, s7, v25
	v_mul_f16_e32 v27, 0xbb9c, v32
	v_mul_f16_e32 v32, 0x34f2, v32
	v_fma_f16 v145, v181, s12, v180
	v_fma_f16 v27, v38, s7, v27
	;; [unrolled: 1-line block ×3, first 2 shown]
	v_mul_f16_e32 v37, 0xbb9c, v25
	v_mul_f16_e32 v25, 0xb4f2, v25
	v_fma_f16 v145, v182, s6, v145
	v_fma_f16 v37, v26, s2, v37
	;; [unrolled: 1-line block ×3, first 2 shown]
	v_add_f16_e32 v26, v53, v27
	v_add_f16_e32 v38, v47, v32
	v_fma_f16 v183, v39, s7, v145
	v_pack_b32_f16 v26, v26, v38
	v_add_f16_e32 v38, v42, v37
	v_add_f16_e32 v44, v31, v25
	;; [unrolled: 1-line block ×4, first 2 shown]
	v_pack_b32_f16 v38, v38, v44
	v_pack_b32_f16 v184, v145, v146
	ds_read2_b32 v[145:146], v101 offset0:88 offset1:178
	s_waitcnt lgkmcnt(0)
	s_barrier
	ds_write2_b32 v159, v26, v38 offset0:60 offset1:90
	v_fma_f16 v26, v177, s12, v176
	v_fma_f16 v26, v178, s6, v26
	;; [unrolled: 1-line block ×12, first 2 shown]
	v_mul_f16_e32 v44, 0xb8b4, v39
	v_mul_f16_e32 v39, 0xba79, v39
	v_fma_f16 v44, v38, s3, v44
	v_fma_f16 v38, v38, s6, v39
	v_sub_f16_e32 v39, v158, v173
	v_sub_f16_e32 v45, v172, v174
	v_add_f16_e32 v46, v26, v44
	v_add_f16_e32 v54, v36, v38
	v_pack_b32_f16 v46, v46, v54
	v_pack_b32_f16 v39, v39, v45
	ds_write2_b32 v159, v46, v39 offset0:120 offset1:150
	v_sub_f16_e32 v39, v179, v156
	v_sub_f16_e32 v27, v53, v27
	;; [unrolled: 1-line block ×4, first 2 shown]
	v_pack_b32_f16 v39, v39, v45
	v_pack_b32_f16 v27, v27, v32
	ds_write2_b32 v159, v39, v27 offset0:180 offset1:210
	v_sub_f16_e32 v27, v42, v37
	v_sub_f16_e32 v26, v26, v44
	;; [unrolled: 1-line block ×4, first 2 shown]
	v_pack_b32_f16 v25, v27, v25
	v_pack_b32_f16 v26, v26, v31
	ds_write2_b32 v164, v25, v26 offset0:112 offset1:142
	v_lshrrev_b32_e32 v25, 16, v145
	v_mul_f16_sdwa v26, v161, v145 dst_sel:DWORD dst_unused:UNUSED_PAD src0_sel:WORD_1 src1_sel:DWORD
	v_fma_f16 v26, v161, v25, -v26
	v_mul_f16_sdwa v25, v161, v25 dst_sel:DWORD dst_unused:UNUSED_PAD src0_sel:WORD_1 src1_sel:DWORD
	v_sub_f16_e32 v37, v19, v24
	v_sub_f16_e32 v38, v41, v33
	v_fma_f16 v25, v161, v145, v25
	v_add_f16_e32 v37, v37, v38
	v_sub_f16_e32 v38, v16, v23
	v_sub_f16_e32 v39, v35, v29
	v_add_f16_e32 v27, v24, v33
	v_add_f16_e32 v31, v19, v41
	;; [unrolled: 1-line block ×3, first 2 shown]
	v_sub_f16_e32 v39, v22, v34
	v_sub_f16_e32 v42, v25, v40
	v_fma_f16 v27, v27, -0.5, v43
	v_fma_f16 v31, v31, -0.5, v43
	v_lshrrev_b32_e32 v32, 16, v43
	v_add_f16_e32 v36, v43, v19
	v_add_f16_e32 v39, v39, v42
	v_sub_f16_e32 v42, v18, v28
	v_sub_f16_e32 v43, v26, v30
	v_add_f16_e32 v47, v28, v30
	v_add_f16_e32 v42, v42, v43
	;; [unrolled: 1-line block ×3, first 2 shown]
	v_fma_f16 v47, v47, -0.5, v17
	v_sub_f16_e32 v53, v22, v25
	v_fma_f16 v43, v43, -0.5, v21
	v_sub_f16_e32 v44, v18, v26
	v_fma_f16 v54, v53, s12, v47
	v_sub_f16_e32 v140, v34, v40
	v_fma_f16 v45, v44, s13, v43
	;; [unrolled: 2-line block ×3, first 2 shown]
	v_fma_f16 v45, v46, s14, v45
	v_fma_f16 v54, v42, s7, v54
	v_fma_f16 v45, v39, s7, v45
	v_mul_f16_e32 v141, 0xb8b4, v54
	v_mul_f16_e32 v54, 0x3a79, v54
	v_fma_f16 v141, v45, s15, v141
	v_fma_f16 v45, v45, s6, v54
	v_add_f16_e32 v54, v32, v16
	v_add_f16_e32 v142, v21, v22
	;; [unrolled: 1-line block ×17, first 2 shown]
	v_sub_f16_e32 v148, v23, v29
	v_sub_f16_e32 v151, v19, v41
	;; [unrolled: 1-line block ×5, first 2 shown]
	v_pack_b32_f16 v144, v144, v145
	v_sub_f16_e32 v145, v16, v35
	v_add_f16_e32 v19, v19, v24
	v_fma_f16 v24, v148, s12, v31
	v_fma_f16 v31, v148, s13, v31
	;; [unrolled: 1-line block ×6, first 2 shown]
	v_add_f16_e32 v31, v16, v35
	v_add_f16_e32 v150, v23, v29
	v_fma_f16 v31, v31, -0.5, v32
	v_sub_f16_e32 v16, v23, v16
	v_sub_f16_e32 v23, v29, v35
	v_add_f16_e32 v16, v16, v23
	v_fma_f16 v23, v153, s13, v31
	v_fma_f16 v29, v153, s12, v31
	v_fma_f16 v23, v151, s6, v23
	v_fma_f16 v29, v151, s14, v29
	v_fma_f16 v23, v16, s7, v23
	v_fma_f16 v16, v16, s7, v29
	v_add_f16_e32 v29, v22, v25
	v_fma_f16 v21, v29, -0.5, v21
	v_sub_f16_e32 v22, v34, v22
	v_sub_f16_e32 v25, v40, v25
	v_add_f16_e32 v22, v22, v25
	v_fma_f16 v25, v46, s12, v21
	v_fma_f16 v21, v46, s13, v21
	v_fma_f16 v25, v44, s14, v25
	v_fma_f16 v21, v44, s6, v21
	v_fma_f16 v25, v22, s7, v25
	v_fma_f16 v21, v22, s7, v21
	;; [unrolled: 11-line block ×3, first 2 shown]
	v_mul_f16_e32 v18, 0xbb9c, v22
	v_mul_f16_e32 v22, 0x34f2, v22
	v_fma_f16 v18, v25, s7, v18
	v_fma_f16 v22, v25, s12, v22
	v_mul_f16_e32 v25, 0xbb9c, v17
	v_mul_f16_e32 v17, 0xb4f2, v17
	v_fma_f16 v25, v21, s2, v25
	v_fma_f16 v17, v21, s12, v17
	v_add_f16_e32 v21, v24, v18
	v_add_f16_e32 v26, v23, v22
	v_pack_b32_f16 v21, v21, v26
	v_add_f16_e32 v26, v19, v25
	v_add_f16_e32 v28, v16, v17
	v_pack_b32_f16 v26, v26, v28
	v_fma_f16 v28, v53, s13, v47
	ds_write2_b32 v159, v175, v184 offset1:30
	v_fma_f16 v147, v145, s13, v27
	v_fma_f16 v150, v150, -0.5, v32
	ds_write2_b32 v162, v21, v26 offset0:60 offset1:90
	v_fma_f16 v21, v145, s12, v27
	v_fma_f16 v27, v44, s12, v43
	;; [unrolled: 1-line block ×9, first 2 shown]
	v_mul_f16_e32 v29, 0xb8b4, v28
	v_mul_f16_e32 v28, 0xba79, v28
	v_fma_f16 v152, v151, s12, v150
	v_fma_f16 v21, v37, s7, v21
	;; [unrolled: 1-line block ×7, first 2 shown]
	v_sub_f16_e32 v28, v36, v142
	v_sub_f16_e32 v30, v54, v143
	v_add_f16_e32 v31, v21, v29
	v_add_f16_e32 v32, v26, v27
	v_fma_f16 v147, v37, s7, v147
	v_fma_f16 v152, v38, s7, v152
	v_pack_b32_f16 v31, v31, v32
	v_pack_b32_f16 v28, v28, v30
	ds_write2_b32 v162, v31, v28 offset0:120 offset1:150
	v_sub_f16_e32 v28, v147, v141
	v_sub_f16_e32 v18, v24, v18
	v_sub_f16_e32 v24, v152, v45
	v_sub_f16_e32 v22, v23, v22
	v_pack_b32_f16 v23, v28, v24
	v_pack_b32_f16 v18, v18, v22
	ds_write2_b32 v162, v23, v18 offset0:180 offset1:210
	v_sub_f16_e32 v18, v19, v25
	v_sub_f16_e32 v19, v21, v29
	v_sub_f16_e32 v16, v16, v17
	v_sub_f16_e32 v17, v26, v27
	v_pack_b32_f16 v16, v18, v16
	v_pack_b32_f16 v17, v19, v17
	ds_write2_b32 v165, v16, v17 offset0:112 offset1:142
	v_lshrrev_b32_e32 v16, 16, v146
	v_mul_f16_sdwa v17, v149, v16 dst_sel:DWORD dst_unused:UNUSED_PAD src0_sel:WORD_1 src1_sel:DWORD
	v_sub_f16_e32 v22, v6, v12
	v_sub_f16_e32 v23, v20, v14
	v_fma_f16 v17, v149, v146, v17
	v_mul_f16_sdwa v18, v149, v146 dst_sel:DWORD dst_unused:UNUSED_PAD src0_sel:WORD_1 src1_sel:DWORD
	v_add_f16_e32 v22, v22, v23
	v_sub_f16_e32 v23, v5, v7
	v_sub_f16_e32 v24, v15, v13
	v_fma_f16 v16, v149, v16, -v18
	v_add_f16_e32 v23, v23, v24
	v_sub_f16_e32 v24, v4, v9
	v_sub_f16_e32 v25, v17, v11
	v_add_f16_e32 v24, v24, v25
	v_sub_f16_e32 v25, v3, v8
	v_sub_f16_e32 v26, v16, v10
	v_add_f16_e32 v30, v8, v10
	v_add_f16_e32 v25, v25, v26
	;; [unrolled: 1-line block ×3, first 2 shown]
	v_fma_f16 v30, v30, -0.5, v1
	v_sub_f16_e32 v31, v4, v17
	v_fma_f16 v26, v26, -0.5, v2
	v_sub_f16_e32 v27, v3, v16
	v_fma_f16 v32, v31, s12, v30
	v_sub_f16_e32 v33, v9, v11
	v_fma_f16 v28, v27, s13, v26
	;; [unrolled: 2-line block ×3, first 2 shown]
	v_fma_f16 v28, v29, s14, v28
	v_fma_f16 v32, v25, s7, v32
	v_add_f16_e32 v18, v12, v14
	v_add_f16_e32 v19, v6, v20
	v_lshrrev_b32_e32 v21, 16, v0
	v_fma_f16 v28, v24, s7, v28
	v_mul_f16_e32 v34, 0xb8b4, v32
	v_mul_f16_e32 v32, 0x3a79, v32
	v_fma_f16 v18, v18, -0.5, v0
	v_fma_f16 v19, v19, -0.5, v0
	v_add_f16_e32 v0, v0, v6
	v_fma_f16 v34, v28, s15, v34
	v_fma_f16 v28, v28, s6, v32
	v_add_f16_e32 v32, v21, v5
	v_add_f16_e32 v35, v2, v4
	;; [unrolled: 1-line block ×17, first 2 shown]
	v_sub_f16_e32 v40, v7, v13
	v_sub_f16_e32 v42, v6, v20
	;; [unrolled: 1-line block ×5, first 2 shown]
	v_pack_b32_f16 v37, v37, v38
	v_sub_f16_e32 v38, v5, v15
	v_add_f16_e32 v6, v6, v12
	v_fma_f16 v12, v40, s12, v19
	v_fma_f16 v14, v40, s13, v19
	;; [unrolled: 1-line block ×6, first 2 shown]
	v_add_f16_e32 v14, v5, v15
	v_add_f16_e32 v41, v7, v13
	v_fma_f16 v14, v14, -0.5, v21
	v_sub_f16_e32 v5, v7, v5
	v_sub_f16_e32 v7, v13, v15
	v_add_f16_e32 v5, v5, v7
	v_fma_f16 v7, v44, s13, v14
	v_fma_f16 v13, v44, s12, v14
	v_fma_f16 v7, v42, s6, v7
	v_fma_f16 v13, v42, s14, v13
	v_fma_f16 v7, v5, s7, v7
	v_fma_f16 v5, v5, s7, v13
	v_add_f16_e32 v13, v4, v17
	v_fma_f16 v2, v13, -0.5, v2
	v_sub_f16_e32 v4, v9, v4
	v_sub_f16_e32 v9, v11, v17
	v_add_f16_e32 v4, v4, v9
	v_fma_f16 v9, v29, s12, v2
	v_fma_f16 v2, v29, s13, v2
	v_fma_f16 v9, v27, s14, v9
	v_fma_f16 v2, v27, s6, v2
	v_fma_f16 v9, v4, s7, v9
	v_fma_f16 v2, v4, s7, v2
	;; [unrolled: 11-line block ×3, first 2 shown]
	v_mul_f16_e32 v3, 0xbb9c, v4
	v_mul_f16_e32 v4, 0x34f2, v4
	v_fma_f16 v3, v9, s7, v3
	v_fma_f16 v4, v9, s12, v4
	v_mul_f16_e32 v8, 0xbb9c, v1
	v_mul_f16_e32 v1, 0xb4f2, v1
	v_fma_f16 v8, v2, s2, v8
	v_fma_f16 v1, v2, s12, v1
	v_add_f16_e32 v2, v12, v3
	v_add_f16_e32 v9, v7, v4
	;; [unrolled: 1-line block ×4, first 2 shown]
	v_pack_b32_f16 v2, v2, v9
	v_add_f16_e32 v9, v6, v8
	v_add_f16_e32 v10, v5, v1
	v_fma_f16 v11, v31, s13, v30
	v_pack_b32_f16 v154, v154, v155
	v_fma_f16 v41, v41, -0.5, v21
	v_pack_b32_f16 v9, v9, v10
	v_fma_f16 v10, v27, s12, v26
	v_fma_f16 v11, v33, s14, v11
	ds_write2_b32 v162, v144, v154 offset1:30
	ds_write2_b32 v163, v2, v9 offset0:60 offset1:90
	v_fma_f16 v2, v38, s12, v18
	v_fma_f16 v9, v42, s13, v41
	;; [unrolled: 1-line block ×7, first 2 shown]
	v_mul_f16_e32 v13, 0xb8b4, v11
	v_mul_f16_e32 v11, 0xba79, v11
	v_fma_f16 v39, v38, s13, v18
	v_fma_f16 v43, v42, s12, v41
	;; [unrolled: 1-line block ×8, first 2 shown]
	v_sub_f16_e32 v0, v0, v35
	v_sub_f16_e32 v11, v32, v36
	v_add_f16_e32 v14, v2, v13
	v_add_f16_e32 v15, v9, v10
	v_fma_f16 v39, v22, s7, v39
	v_fma_f16 v43, v23, s7, v43
	v_pack_b32_f16 v14, v14, v15
	v_pack_b32_f16 v0, v0, v11
	ds_write2_b32 v163, v14, v0 offset0:120 offset1:150
	v_sub_f16_e32 v0, v39, v34
	v_sub_f16_e32 v3, v12, v3
	;; [unrolled: 1-line block ×4, first 2 shown]
	v_pack_b32_f16 v0, v0, v11
	v_pack_b32_f16 v3, v3, v4
	v_add_f16_e32 v45, v39, v34
	v_add_f16_e32 v46, v43, v28
	ds_write2_b32 v163, v0, v3 offset0:180 offset1:210
	v_sub_f16_e32 v0, v6, v8
	v_sub_f16_e32 v2, v2, v13
	;; [unrolled: 1-line block ×4, first 2 shown]
	v_pack_b32_f16 v45, v45, v46
	v_pack_b32_f16 v0, v0, v1
	;; [unrolled: 1-line block ×3, first 2 shown]
	ds_write2_b32 v163, v37, v45 offset1:30
	ds_write2_b32 v166, v0, v1 offset0:112 offset1:142
	s_waitcnt lgkmcnt(0)
	s_barrier
	ds_read2_b32 v[0:1], v136 offset0:132 offset1:222
	ds_read2_b32 v[2:3], v135 offset0:8 offset1:98
	s_mov_b32 s2, 0xa0ce5129
	s_mov_b32 s3, 0x3f3845c8
	s_movk_i32 s6, 0x1ff
	s_waitcnt lgkmcnt(1)
	v_lshrrev_b32_e32 v4, 16, v0
	v_mul_f16_sdwa v5, v55, v0 dst_sel:DWORD dst_unused:UNUSED_PAD src0_sel:WORD_1 src1_sel:DWORD
	v_fma_f16 v5, v55, v4, -v5
	v_mul_f16_sdwa v4, v55, v4 dst_sel:DWORD dst_unused:UNUSED_PAD src0_sel:WORD_1 src1_sel:DWORD
	v_fma_f16 v4, v55, v0, v4
	s_waitcnt lgkmcnt(0)
	v_lshrrev_b32_e32 v0, 16, v2
	v_mul_f16_sdwa v6, v56, v2 dst_sel:DWORD dst_unused:UNUSED_PAD src0_sel:WORD_1 src1_sel:DWORD
	v_fma_f16 v6, v56, v0, -v6
	v_mul_f16_sdwa v0, v56, v0 dst_sel:DWORD dst_unused:UNUSED_PAD src0_sel:WORD_1 src1_sel:DWORD
	v_fma_f16 v7, v56, v2, v0
	v_lshrrev_b32_e32 v0, 16, v1
	v_mul_f16_sdwa v2, v57, v0 dst_sel:DWORD dst_unused:UNUSED_PAD src0_sel:WORD_1 src1_sel:DWORD
	v_fma_f16 v8, v57, v1, v2
	v_mul_f16_sdwa v1, v57, v1 dst_sel:DWORD dst_unused:UNUSED_PAD src0_sel:WORD_1 src1_sel:DWORD
	v_lshrrev_b32_e32 v2, 16, v3
	v_fma_f16 v9, v57, v0, -v1
	ds_read2_b32 v[0:1], v128 offset0:56 offset1:146
	v_mul_f16_sdwa v10, v58, v2 dst_sel:DWORD dst_unused:UNUSED_PAD src0_sel:WORD_1 src1_sel:DWORD
	v_fma_f16 v10, v58, v3, v10
	v_mul_f16_sdwa v3, v58, v3 dst_sel:DWORD dst_unused:UNUSED_PAD src0_sel:WORD_1 src1_sel:DWORD
	v_fma_f16 v11, v58, v2, -v3
	ds_read2_b32 v[2:3], v131 offset0:60 offset1:150
	s_waitcnt lgkmcnt(1)
	v_lshrrev_b32_e32 v12, 16, v0
	v_mul_f16_sdwa v13, v77, v0 dst_sel:DWORD dst_unused:UNUSED_PAD src0_sel:WORD_1 src1_sel:DWORD
	v_fma_f16 v13, v77, v12, -v13
	v_mul_f16_sdwa v12, v77, v12 dst_sel:DWORD dst_unused:UNUSED_PAD src0_sel:WORD_1 src1_sel:DWORD
	v_fma_f16 v12, v77, v0, v12
	s_waitcnt lgkmcnt(0)
	v_lshrrev_b32_e32 v0, 16, v2
	v_mul_f16_sdwa v14, v78, v2 dst_sel:DWORD dst_unused:UNUSED_PAD src0_sel:WORD_1 src1_sel:DWORD
	v_fma_f16 v14, v78, v0, -v14
	v_mul_f16_sdwa v0, v78, v0 dst_sel:DWORD dst_unused:UNUSED_PAD src0_sel:WORD_1 src1_sel:DWORD
	v_fma_f16 v15, v78, v2, v0
	v_lshrrev_b32_e32 v0, 16, v1
	v_mul_f16_sdwa v2, v75, v0 dst_sel:DWORD dst_unused:UNUSED_PAD src0_sel:WORD_1 src1_sel:DWORD
	v_fma_f16 v16, v75, v1, v2
	v_mul_f16_sdwa v1, v75, v1 dst_sel:DWORD dst_unused:UNUSED_PAD src0_sel:WORD_1 src1_sel:DWORD
	v_lshrrev_b32_e32 v2, 16, v3
	v_fma_f16 v17, v75, v0, -v1
	ds_read2_b32 v[0:1], v121 offset0:108 offset1:198
	v_mul_f16_sdwa v18, v76, v2 dst_sel:DWORD dst_unused:UNUSED_PAD src0_sel:WORD_1 src1_sel:DWORD
	v_fma_f16 v18, v76, v3, v18
	v_mul_f16_sdwa v3, v76, v3 dst_sel:DWORD dst_unused:UNUSED_PAD src0_sel:WORD_1 src1_sel:DWORD
	v_fma_f16 v19, v76, v2, -v3
	ds_read2_b32 v[2:3], v115 offset0:112 offset1:202
	;; [unrolled: 24-line block ×4, first 2 shown]
	s_waitcnt lgkmcnt(1)
	v_lshrrev_b32_e32 v36, 16, v0
	v_mul_f16_sdwa v37, v73, v0 dst_sel:DWORD dst_unused:UNUSED_PAD src0_sel:WORD_1 src1_sel:DWORD
	v_fma_f16 v37, v73, v36, -v37
	v_mul_f16_sdwa v36, v73, v36 dst_sel:DWORD dst_unused:UNUSED_PAD src0_sel:WORD_1 src1_sel:DWORD
	v_fma_f16 v36, v73, v0, v36
	s_waitcnt lgkmcnt(0)
	v_lshrrev_b32_e32 v0, 16, v2
	v_mul_f16_sdwa v38, v74, v2 dst_sel:DWORD dst_unused:UNUSED_PAD src0_sel:WORD_1 src1_sel:DWORD
	v_fma_f16 v38, v74, v0, -v38
	v_mul_f16_sdwa v0, v74, v0 dst_sel:DWORD dst_unused:UNUSED_PAD src0_sel:WORD_1 src1_sel:DWORD
	v_fma_f16 v39, v74, v2, v0
	v_lshrrev_b32_e32 v0, 16, v1
	v_mul_f16_sdwa v2, v69, v0 dst_sel:DWORD dst_unused:UNUSED_PAD src0_sel:WORD_1 src1_sel:DWORD
	v_fma_f16 v40, v69, v1, v2
	v_mul_f16_sdwa v1, v69, v1 dst_sel:DWORD dst_unused:UNUSED_PAD src0_sel:WORD_1 src1_sel:DWORD
	v_fma_f16 v41, v69, v0, -v1
	ds_read2_b32 v[0:1], v134 offset1:90
	v_lshrrev_b32_e32 v2, 16, v3
	v_mul_f16_sdwa v42, v70, v2 dst_sel:DWORD dst_unused:UNUSED_PAD src0_sel:WORD_1 src1_sel:DWORD
	v_fma_f16 v42, v70, v3, v42
	v_mul_f16_sdwa v3, v70, v3 dst_sel:DWORD dst_unused:UNUSED_PAD src0_sel:WORD_1 src1_sel:DWORD
	v_fma_f16 v43, v70, v2, -v3
	v_add_f16_e32 v2, v4, v7
	s_waitcnt lgkmcnt(0)
	v_fma_f16 v2, v2, -0.5, v0
	v_sub_f16_e32 v3, v5, v6
	v_fma_f16 v44, v3, s1, v2
	v_fma_f16 v45, v3, s0, v2
	v_lshrrev_b32_e32 v2, 16, v0
	v_add_f16_e32 v3, v2, v5
	v_add_f16_e32 v5, v5, v6
	v_fma_f16 v2, v5, -0.5, v2
	v_add_f16_e32 v0, v0, v4
	v_sub_f16_e32 v4, v4, v7
	v_fma_f16 v5, v4, s0, v2
	v_add_f16_e32 v3, v3, v6
	v_add_f16_e32 v0, v0, v7
	v_fma_f16 v46, v4, s1, v2
	v_add_f16_e32 v2, v8, v10
	v_lshrrev_b32_e32 v49, 16, v1
	v_pack_b32_f16 v44, v44, v5
	v_fma_f16 v47, v2, -0.5, v1
	v_add_f16_e32 v50, v1, v8
	v_pack_b32_f16 v51, v0, v3
	ds_read2_b32 v[0:1], v132 offset0:52 offset1:142
	ds_read2_b32 v[2:3], v118 offset0:104 offset1:194
	;; [unrolled: 1-line block ×4, first 2 shown]
	s_waitcnt lgkmcnt(0)
	s_barrier
	ds_write_b32 v134, v44 offset:1200
	v_pack_b32_f16 v44, v45, v46
	v_add_f16_e32 v45, v49, v9
	ds_write_b32 v134, v44 offset:2400
	v_add_f16_e32 v44, v50, v10
	v_add_f16_e32 v45, v45, v11
	v_pack_b32_f16 v44, v44, v45
	v_sub_f16_e32 v8, v8, v10
	v_lshrrev_b32_e32 v10, 16, v0
	ds_write2_b32 v134, v51, v44 offset1:90
	v_sub_f16_e32 v44, v9, v11
	v_add_f16_e32 v9, v9, v11
	v_add_f16_e32 v11, v10, v13
	v_sub_f16_e32 v45, v13, v14
	v_add_f16_e32 v13, v13, v14
	v_fma_f16 v10, v13, -0.5, v10
	v_add_f16_e32 v13, v0, v12
	v_add_f16_e32 v11, v11, v14
	;; [unrolled: 1-line block ×4, first 2 shown]
	v_fma_f16 v9, v9, -0.5, v49
	v_sub_f16_e32 v12, v12, v15
	v_pack_b32_f16 v11, v13, v11
	v_fma_f16 v0, v14, -0.5, v0
	v_fma_f16 v15, v44, s1, v47
	v_fma_f16 v46, v8, s0, v9
	ds_write_b32 v134, v11 offset:720
	v_fma_f16 v11, v45, s1, v0
	v_fma_f16 v13, v12, s0, v10
	v_pack_b32_f16 v15, v15, v46
	v_pack_b32_f16 v11, v11, v13
	ds_write2_b32 v118, v15, v11 offset0:134 offset1:224
	v_fma_f16 v11, v44, s0, v47
	v_fma_f16 v8, v8, s1, v9
	;; [unrolled: 1-line block ×4, first 2 shown]
	v_pack_b32_f16 v8, v11, v8
	v_pack_b32_f16 v0, v0, v9
	ds_write2_b32 v100, v8, v0 offset0:50 offset1:140
	v_add_f16_e32 v0, v16, v18
	v_fma_f16 v0, v0, -0.5, v1
	v_lshrrev_b32_e32 v8, 16, v1
	v_sub_f16_e32 v9, v17, v19
	v_add_f16_e32 v11, v17, v19
	v_fma_f16 v10, v9, s1, v0
	v_fma_f16 v0, v9, s0, v0
	v_add_f16_e32 v9, v8, v17
	v_fma_f16 v8, v11, -0.5, v8
	v_sub_f16_e32 v11, v16, v18
	v_add_f16_e32 v1, v1, v16
	v_fma_f16 v12, v11, s0, v8
	v_fma_f16 v8, v11, s1, v8
	v_add_f16_e32 v9, v9, v19
	v_add_f16_e32 v1, v1, v18
	v_pack_b32_f16 v0, v0, v8
	v_pack_b32_f16 v1, v1, v9
	ds_write_b32 v167, v0 offset:2400
	v_add_f16_e32 v0, v20, v23
	v_lshrrev_b32_e32 v8, 16, v2
	ds_write_b32 v167, v1
	v_pack_b32_f16 v1, v10, v12
	v_fma_f16 v0, v0, -0.5, v2
	v_add_f16_e32 v2, v2, v20
	v_add_f16_e32 v10, v8, v21
	ds_write_b32 v167, v1 offset:1200
	v_add_f16_e32 v1, v24, v26
	v_lshrrev_b32_e32 v9, 16, v3
	v_add_f16_e32 v2, v2, v23
	v_add_f16_e32 v10, v10, v22
	v_fma_f16 v1, v1, -0.5, v3
	v_add_f16_e32 v3, v3, v24
	v_pack_b32_f16 v2, v2, v10
	v_add_f16_e32 v10, v9, v25
	v_add_f16_e32 v3, v3, v26
	;; [unrolled: 1-line block ×3, first 2 shown]
	v_pack_b32_f16 v3, v3, v10
	ds_write2_b32 v137, v2, v3 offset0:64 offset1:154
	v_add_f16_e32 v3, v21, v22
	v_sub_f16_e32 v2, v21, v22
	v_fma_f16 v3, v3, -0.5, v8
	v_sub_f16_e32 v8, v20, v23
	v_add_f16_e32 v11, v25, v27
	v_sub_f16_e32 v10, v25, v27
	v_fma_f16 v9, v11, -0.5, v9
	v_sub_f16_e32 v11, v24, v26
	v_fma_f16 v12, v2, s1, v0
	v_fma_f16 v13, v8, s0, v3
	v_pack_b32_f16 v12, v12, v13
	v_fma_f16 v13, v10, s1, v1
	v_fma_f16 v0, v2, s0, v0
	;; [unrolled: 1-line block ×5, first 2 shown]
	v_pack_b32_f16 v0, v0, v2
	v_pack_b32_f16 v1, v1, v3
	ds_write2_b32 v102, v0, v1 offset0:24 offset1:114
	v_add_f16_e32 v0, v28, v31
	v_fma_f16 v0, v0, -0.5, v4
	v_sub_f16_e32 v1, v29, v30
	v_fma_f16 v2, v1, s1, v0
	v_fma_f16 v0, v1, s0, v0
	v_lshrrev_b32_e32 v1, 16, v4
	v_add_f16_e32 v8, v29, v30
	v_add_f16_e32 v3, v1, v29
	v_fma_f16 v1, v8, -0.5, v1
	v_sub_f16_e32 v8, v28, v31
	v_fma_f16 v14, v11, s0, v9
	v_add_f16_e32 v4, v4, v28
	v_fma_f16 v9, v8, s0, v1
	v_fma_f16 v1, v8, s1, v1
	v_pack_b32_f16 v13, v13, v14
	v_add_f16_e32 v3, v3, v30
	v_add_f16_e32 v4, v4, v31
	v_pack_b32_f16 v0, v0, v1
	ds_write2_b32 v121, v12, v13 offset0:108 offset1:198
	v_pack_b32_f16 v3, v4, v3
	v_pack_b32_f16 v2, v2, v9
	ds_write_b32 v171, v0 offset:2400
	v_add_f16_e32 v0, v32, v34
	ds_write_b32 v171, v3
	ds_write_b32 v171, v2 offset:1200
	v_fma_f16 v0, v0, -0.5, v5
	v_lshrrev_b32_e32 v1, 16, v5
	v_add_f16_e32 v2, v5, v32
	v_sub_f16_e32 v3, v33, v35
	v_add_f16_e32 v5, v33, v35
	v_fma_f16 v4, v3, s1, v0
	v_fma_f16 v0, v3, s0, v0
	v_add_f16_e32 v3, v1, v33
	v_fma_f16 v1, v5, -0.5, v1
	v_sub_f16_e32 v5, v32, v34
	v_fma_f16 v8, v5, s0, v1
	v_fma_f16 v1, v5, s1, v1
	v_add_f16_e32 v3, v3, v35
	v_add_f16_e32 v2, v2, v34
	v_pack_b32_f16 v0, v0, v1
	v_pack_b32_f16 v2, v2, v3
	ds_write_b32 v170, v0 offset:9600
	v_add_f16_e32 v0, v36, v39
	ds_write_b32 v170, v2 offset:7200
	v_pack_b32_f16 v2, v4, v8
	v_fma_f16 v0, v0, -0.5, v6
	v_sub_f16_e32 v1, v37, v38
	ds_write_b32 v170, v2 offset:8400
	v_fma_f16 v2, v1, s1, v0
	v_fma_f16 v0, v1, s0, v0
	v_lshrrev_b32_e32 v1, 16, v6
	v_add_f16_e32 v4, v37, v38
	v_add_f16_e32 v3, v1, v37
	v_fma_f16 v1, v4, -0.5, v1
	v_sub_f16_e32 v5, v36, v39
	v_add_f16_e32 v4, v6, v36
	v_fma_f16 v6, v5, s0, v1
	v_fma_f16 v1, v5, s1, v1
	v_add_f16_e32 v5, v40, v42
	v_fma_f16 v5, v5, -0.5, v7
	v_lshrrev_b32_e32 v8, 16, v7
	v_sub_f16_e32 v9, v41, v43
	v_add_f16_e32 v7, v7, v40
	v_fma_f16 v10, v9, s1, v5
	v_fma_f16 v5, v9, s0, v5
	v_add_f16_e32 v9, v8, v41
	v_add_f16_e32 v11, v41, v43
	;; [unrolled: 1-line block ×5, first 2 shown]
	v_fma_f16 v8, v11, -0.5, v8
	v_add_f16_e32 v7, v7, v42
	v_sub_f16_e32 v11, v40, v42
	v_pack_b32_f16 v0, v0, v1
	v_fma_f16 v12, v11, s0, v8
	v_pack_b32_f16 v3, v4, v3
	ds_write_b32 v168, v0 offset:9600
	v_pack_b32_f16 v0, v7, v9
	v_fma_f16 v8, v11, s1, v8
	ds_write_b32 v168, v3 offset:7200
	v_pack_b32_f16 v2, v2, v6
	ds_write_b32 v169, v0 offset:7200
	v_pack_b32_f16 v0, v10, v12
	ds_write_b32 v168, v2 offset:8400
	ds_write_b32 v169, v0 offset:8400
	v_pack_b32_f16 v0, v5, v8
	ds_write_b32 v169, v0 offset:9600
	s_waitcnt lgkmcnt(0)
	s_barrier
	ds_read2_b32 v[0:1], v136 offset0:132 offset1:222
	ds_read2_b32 v[2:3], v135 offset0:8 offset1:98
	s_movk_i32 s7, 0xffe
	s_waitcnt lgkmcnt(1)
	v_lshrrev_b32_e32 v4, 16, v0
	v_mul_f16_sdwa v7, v65, v4 dst_sel:DWORD dst_unused:UNUSED_PAD src0_sel:WORD_1 src1_sel:DWORD
	v_fma_f16 v7, v65, v0, v7
	v_mul_f16_sdwa v0, v65, v0 dst_sel:DWORD dst_unused:UNUSED_PAD src0_sel:WORD_1 src1_sel:DWORD
	s_waitcnt lgkmcnt(0)
	v_lshrrev_b32_e32 v5, 16, v2
	v_fma_f16 v4, v65, v4, -v0
	v_mul_f16_sdwa v0, v66, v2 dst_sel:DWORD dst_unused:UNUSED_PAD src0_sel:WORD_1 src1_sel:DWORD
	v_lshrrev_b32_e32 v6, 16, v1
	v_fma_f16 v8, v66, v5, -v0
	v_mul_f16_sdwa v0, v66, v5 dst_sel:DWORD dst_unused:UNUSED_PAD src0_sel:WORD_1 src1_sel:DWORD
	v_fma_f16 v5, v66, v2, v0
	v_mul_f16_sdwa v0, v63, v6 dst_sel:DWORD dst_unused:UNUSED_PAD src0_sel:WORD_1 src1_sel:DWORD
	v_fma_f16 v9, v63, v1, v0
	v_mul_f16_sdwa v0, v63, v1 dst_sel:DWORD dst_unused:UNUSED_PAD src0_sel:WORD_1 src1_sel:DWORD
	v_lshrrev_b32_e32 v2, 16, v3
	v_fma_f16 v10, v63, v6, -v0
	ds_read2_b32 v[0:1], v128 offset0:56 offset1:146
	v_mul_f16_sdwa v6, v64, v2 dst_sel:DWORD dst_unused:UNUSED_PAD src0_sel:WORD_1 src1_sel:DWORD
	v_fma_f16 v11, v64, v3, v6
	v_mul_f16_sdwa v3, v64, v3 dst_sel:DWORD dst_unused:UNUSED_PAD src0_sel:WORD_1 src1_sel:DWORD
	v_fma_f16 v12, v64, v2, -v3
	ds_read2_b32 v[2:3], v131 offset0:60 offset1:150
	s_waitcnt lgkmcnt(1)
	v_lshrrev_b32_e32 v6, 16, v0
	v_mul_f16_sdwa v13, v61, v6 dst_sel:DWORD dst_unused:UNUSED_PAD src0_sel:WORD_1 src1_sel:DWORD
	v_fma_f16 v13, v61, v0, v13
	v_mul_f16_sdwa v0, v61, v0 dst_sel:DWORD dst_unused:UNUSED_PAD src0_sel:WORD_1 src1_sel:DWORD
	v_fma_f16 v14, v61, v6, -v0
	s_waitcnt lgkmcnt(0)
	v_lshrrev_b32_e32 v0, 16, v2
	v_mul_f16_sdwa v6, v62, v2 dst_sel:DWORD dst_unused:UNUSED_PAD src0_sel:WORD_1 src1_sel:DWORD
	v_fma_f16 v15, v62, v0, -v6
	v_mul_f16_sdwa v0, v62, v0 dst_sel:DWORD dst_unused:UNUSED_PAD src0_sel:WORD_1 src1_sel:DWORD
	v_fma_f16 v16, v62, v2, v0
	v_lshrrev_b32_e32 v0, 16, v1
	v_mul_f16_sdwa v2, v59, v0 dst_sel:DWORD dst_unused:UNUSED_PAD src0_sel:WORD_1 src1_sel:DWORD
	v_fma_f16 v17, v59, v1, v2
	v_mul_f16_sdwa v1, v59, v1 dst_sel:DWORD dst_unused:UNUSED_PAD src0_sel:WORD_1 src1_sel:DWORD
	v_lshrrev_b32_e32 v2, 16, v3
	v_fma_f16 v18, v59, v0, -v1
	ds_read2_b32 v[0:1], v121 offset0:108 offset1:198
	v_mul_f16_sdwa v6, v60, v2 dst_sel:DWORD dst_unused:UNUSED_PAD src0_sel:WORD_1 src1_sel:DWORD
	v_fma_f16 v19, v60, v3, v6
	v_mul_f16_sdwa v3, v60, v3 dst_sel:DWORD dst_unused:UNUSED_PAD src0_sel:WORD_1 src1_sel:DWORD
	v_fma_f16 v20, v60, v2, -v3
	ds_read2_b32 v[2:3], v115 offset0:112 offset1:202
	s_waitcnt lgkmcnt(1)
	v_lshrrev_b32_e32 v6, 16, v0
	v_mul_f16_sdwa v21, v79, v0 dst_sel:DWORD dst_unused:UNUSED_PAD src0_sel:WORD_1 src1_sel:DWORD
	v_fma_f16 v21, v79, v6, -v21
	v_mul_f16_sdwa v6, v79, v6 dst_sel:DWORD dst_unused:UNUSED_PAD src0_sel:WORD_1 src1_sel:DWORD
	v_fma_f16 v22, v79, v0, v6
	s_waitcnt lgkmcnt(0)
	v_lshrrev_b32_e32 v0, 16, v2
	v_mul_f16_sdwa v6, v80, v2 dst_sel:DWORD dst_unused:UNUSED_PAD src0_sel:WORD_1 src1_sel:DWORD
	v_fma_f16 v23, v80, v0, -v6
	v_mul_f16_sdwa v0, v80, v0 dst_sel:DWORD dst_unused:UNUSED_PAD src0_sel:WORD_1 src1_sel:DWORD
	v_fma_f16 v24, v80, v2, v0
	v_lshrrev_b32_e32 v0, 16, v1
	v_mul_f16_sdwa v2, v81, v0 dst_sel:DWORD dst_unused:UNUSED_PAD src0_sel:WORD_1 src1_sel:DWORD
	v_fma_f16 v25, v81, v1, v2
	v_mul_f16_sdwa v1, v81, v1 dst_sel:DWORD dst_unused:UNUSED_PAD src0_sel:WORD_1 src1_sel:DWORD
	v_lshrrev_b32_e32 v2, 16, v3
	v_fma_f16 v26, v81, v0, -v1
	ds_read2_b32 v[0:1], v108 offset0:160 offset1:250
	v_mul_f16_sdwa v6, v82, v2 dst_sel:DWORD dst_unused:UNUSED_PAD src0_sel:WORD_1 src1_sel:DWORD
	v_fma_f16 v27, v82, v3, v6
	v_mul_f16_sdwa v3, v82, v3 dst_sel:DWORD dst_unused:UNUSED_PAD src0_sel:WORD_1 src1_sel:DWORD
	v_fma_f16 v28, v82, v2, -v3
	ds_read2_b32 v[2:3], v106 offset0:36 offset1:126
	s_waitcnt lgkmcnt(1)
	v_lshrrev_b32_e32 v6, 16, v0
	v_mul_f16_sdwa v29, v83, v0 dst_sel:DWORD dst_unused:UNUSED_PAD src0_sel:WORD_1 src1_sel:DWORD
	v_fma_f16 v29, v83, v6, -v29
	v_mul_f16_sdwa v6, v83, v6 dst_sel:DWORD dst_unused:UNUSED_PAD src0_sel:WORD_1 src1_sel:DWORD
	v_fma_f16 v30, v83, v0, v6
	;; [unrolled: 24-line block ×3, first 2 shown]
	s_waitcnt lgkmcnt(0)
	v_lshrrev_b32_e32 v0, 16, v2
	v_mul_f16_sdwa v6, v88, v2 dst_sel:DWORD dst_unused:UNUSED_PAD src0_sel:WORD_1 src1_sel:DWORD
	v_fma_f16 v39, v88, v0, -v6
	v_mul_f16_sdwa v0, v88, v0 dst_sel:DWORD dst_unused:UNUSED_PAD src0_sel:WORD_1 src1_sel:DWORD
	v_fma_f16 v40, v88, v2, v0
	v_lshrrev_b32_e32 v0, 16, v1
	v_mul_f16_sdwa v2, v89, v0 dst_sel:DWORD dst_unused:UNUSED_PAD src0_sel:WORD_1 src1_sel:DWORD
	v_fma_f16 v41, v89, v1, v2
	v_mul_f16_sdwa v1, v89, v1 dst_sel:DWORD dst_unused:UNUSED_PAD src0_sel:WORD_1 src1_sel:DWORD
	v_fma_f16 v42, v89, v0, -v1
	ds_read2_b32 v[0:1], v134 offset1:90
	v_lshrrev_b32_e32 v2, 16, v3
	v_mul_f16_sdwa v6, v90, v2 dst_sel:DWORD dst_unused:UNUSED_PAD src0_sel:WORD_1 src1_sel:DWORD
	v_fma_f16 v43, v90, v3, v6
	v_mul_f16_sdwa v3, v90, v3 dst_sel:DWORD dst_unused:UNUSED_PAD src0_sel:WORD_1 src1_sel:DWORD
	v_fma_f16 v44, v90, v2, -v3
	v_add_f16_e32 v2, v7, v5
	s_waitcnt lgkmcnt(0)
	v_fma_f16 v2, v2, -0.5, v0
	v_sub_f16_e32 v3, v4, v8
	v_fma_f16 v6, v3, s1, v2
	v_fma_f16 v2, v3, s0, v2
	v_lshrrev_b32_e32 v3, 16, v0
	v_add_f16_e32 v45, v3, v4
	v_add_f16_e32 v4, v4, v8
	v_fma_f16 v3, v4, -0.5, v3
	v_add_f16_e32 v0, v0, v7
	v_sub_f16_e32 v4, v7, v5
	v_add_f16_e32 v45, v45, v8
	v_add_f16_e32 v0, v0, v5
	v_fma_f16 v5, v4, s0, v3
	v_fma_f16 v3, v4, s1, v3
	v_add_f16_e32 v4, v9, v11
	v_pack_b32_f16 v45, v0, v45
	v_pack_b32_f16 v0, v6, v5
	v_fma_f16 v8, v4, -0.5, v1
	v_lshrrev_b32_e32 v46, 16, v1
	v_add_f16_e32 v1, v1, v9
	ds_write_b32 v134, v0 offset:3600
	v_pack_b32_f16 v0, v2, v3
	ds_write_b32 v134, v0 offset:7200
	v_add_f16_e32 v0, v1, v11
	v_add_f16_e32 v1, v46, v10
	;; [unrolled: 1-line block ×3, first 2 shown]
	v_pack_b32_f16 v47, v0, v1
	ds_read2_b32 v[0:1], v132 offset0:52 offset1:142
	ds_read2_b32 v[2:3], v118 offset0:104 offset1:194
	;; [unrolled: 1-line block ×4, first 2 shown]
	ds_write2_b32 v134, v45, v47 offset1:90
	v_sub_f16_e32 v45, v10, v12
	v_add_f16_e32 v10, v10, v12
	v_fma_f16 v10, v10, -0.5, v46
	v_sub_f16_e32 v9, v9, v11
	v_fma_f16 v11, v45, s1, v8
	v_fma_f16 v12, v9, s0, v10
	v_pack_b32_f16 v11, v11, v12
	v_add_f16_e32 v12, v13, v16
	s_waitcnt lgkmcnt(4)
	v_lshrrev_b32_e32 v46, 16, v0
	v_add_f16_e32 v47, v14, v15
	v_fma_f16 v12, v12, -0.5, v0
	v_fma_f16 v47, v47, -0.5, v46
	v_sub_f16_e32 v49, v14, v15
	v_sub_f16_e32 v51, v13, v16
	v_fma_f16 v50, v49, s1, v12
	v_fma_f16 v52, v51, s0, v47
	v_pack_b32_f16 v50, v50, v52
	ds_write2_b32 v137, v11, v50 offset0:94 offset1:184
	v_fma_f16 v8, v45, s0, v8
	v_fma_f16 v9, v9, s1, v10
	;; [unrolled: 1-line block ×4, first 2 shown]
	v_pack_b32_f16 v8, v8, v9
	v_pack_b32_f16 v9, v10, v11
	ds_write2_b32 v135, v8, v9 offset0:98 offset1:188
	v_add_f16_e32 v0, v0, v13
	v_add_f16_e32 v8, v46, v14
	;; [unrolled: 1-line block ×5, first 2 shown]
	v_lshrrev_b32_e32 v10, 16, v1
	v_fma_f16 v9, v9, -0.5, v1
	v_add_f16_e32 v1, v1, v17
	v_pack_b32_f16 v0, v0, v8
	v_add_f16_e32 v8, v10, v18
	v_add_f16_e32 v1, v1, v19
	;; [unrolled: 1-line block ×3, first 2 shown]
	v_pack_b32_f16 v1, v1, v8
	ds_write2_b32 v132, v0, v1 offset0:52 offset1:142
	v_add_f16_e32 v1, v18, v20
	v_sub_f16_e32 v0, v18, v20
	v_fma_f16 v1, v1, -0.5, v10
	v_sub_f16_e32 v8, v17, v19
	v_fma_f16 v10, v0, s1, v9
	v_fma_f16 v11, v8, s0, v1
	v_pack_b32_f16 v10, v10, v11
	v_add_f16_e32 v11, v22, v24
	s_waitcnt lgkmcnt(6)
	v_lshrrev_b32_e32 v12, 16, v2
	v_add_f16_e32 v13, v21, v23
	v_fma_f16 v11, v11, -0.5, v2
	v_fma_f16 v13, v13, -0.5, v12
	v_sub_f16_e32 v14, v21, v23
	v_sub_f16_e32 v16, v22, v24
	v_fma_f16 v15, v14, s1, v11
	v_fma_f16 v17, v16, s0, v13
	v_pack_b32_f16 v15, v15, v17
	ds_write2_b32 v128, v10, v15 offset0:146 offset1:236
	v_fma_f16 v0, v0, s0, v9
	v_fma_f16 v1, v8, s1, v1
	;; [unrolled: 1-line block ×4, first 2 shown]
	v_add_f16_e32 v11, v25, v27
	v_pack_b32_f16 v0, v0, v1
	v_pack_b32_f16 v1, v8, v10
	v_add_f16_e32 v9, v12, v21
	v_fma_f16 v11, v11, -0.5, v3
	v_lshrrev_b32_e32 v12, 16, v3
	v_sub_f16_e32 v13, v26, v28
	v_add_f16_e32 v15, v26, v28
	ds_write2_b32 v115, v0, v1 offset0:22 offset1:112
	v_add_f16_e32 v0, v30, v32
	v_fma_f16 v14, v13, s1, v11
	v_fma_f16 v11, v13, s0, v11
	v_add_f16_e32 v13, v12, v26
	v_fma_f16 v12, v15, -0.5, v12
	v_sub_f16_e32 v15, v25, v27
	s_waitcnt lgkmcnt(7)
	v_fma_f16 v0, v0, -0.5, v4
	v_sub_f16_e32 v1, v29, v31
	v_fma_f16 v16, v15, s0, v12
	v_fma_f16 v12, v15, s1, v12
	;; [unrolled: 1-line block ×4, first 2 shown]
	v_lshrrev_b32_e32 v1, 16, v4
	v_add_f16_e32 v15, v29, v31
	v_add_f16_e32 v10, v1, v29
	v_fma_f16 v1, v15, -0.5, v1
	v_sub_f16_e32 v15, v30, v32
	v_fma_f16 v17, v15, s0, v1
	v_fma_f16 v1, v15, s1, v1
	v_add_f16_e32 v15, v33, v35
	v_fma_f16 v15, v15, -0.5, v5
	v_lshrrev_b32_e32 v18, 16, v5
	v_sub_f16_e32 v19, v34, v36
	v_add_f16_e32 v21, v34, v36
	v_fma_f16 v20, v19, s1, v15
	v_fma_f16 v15, v19, s0, v15
	v_add_f16_e32 v19, v18, v34
	v_fma_f16 v18, v21, -0.5, v18
	v_sub_f16_e32 v21, v33, v35
	v_add_f16_e32 v2, v2, v22
	v_fma_f16 v22, v21, s0, v18
	v_fma_f16 v18, v21, s1, v18
	v_add_f16_e32 v21, v38, v40
	v_add_f16_e32 v9, v9, v23
	v_add_f16_e32 v3, v3, v25
	s_waitcnt lgkmcnt(6)
	v_fma_f16 v21, v21, -0.5, v6
	v_sub_f16_e32 v23, v37, v39
	v_add_f16_e32 v2, v2, v24
	v_add_f16_e32 v13, v13, v28
	;; [unrolled: 1-line block ×3, first 2 shown]
	v_fma_f16 v24, v23, s1, v21
	v_fma_f16 v21, v23, s0, v21
	v_lshrrev_b32_e32 v23, 16, v6
	v_add_f16_e32 v26, v37, v39
	v_add_f16_e32 v4, v4, v30
	;; [unrolled: 1-line block ×4, first 2 shown]
	v_fma_f16 v23, v26, -0.5, v23
	v_sub_f16_e32 v26, v38, v40
	v_pack_b32_f16 v2, v2, v9
	v_pack_b32_f16 v3, v3, v13
	v_add_f16_e32 v10, v10, v31
	v_add_f16_e32 v4, v4, v32
	;; [unrolled: 1-line block ×4, first 2 shown]
	v_fma_f16 v27, v26, s0, v23
	v_fma_f16 v23, v26, s1, v23
	v_add_f16_e32 v26, v41, v43
	ds_write2_b32 v118, v2, v3 offset0:104 offset1:194
	v_pack_b32_f16 v3, v11, v12
	v_pack_b32_f16 v0, v0, v1
	v_fma_f16 v26, v26, -0.5, v7
	v_lshrrev_b32_e32 v28, 16, v7
	v_sub_f16_e32 v29, v42, v44
	v_pack_b32_f16 v4, v4, v10
	ds_write2_b32 v138, v3, v0 offset0:74 offset1:164
	v_pack_b32_f16 v0, v5, v19
	v_add_f16_e32 v6, v6, v38
	v_add_f16_e32 v7, v7, v41
	v_fma_f16 v30, v29, s1, v26
	v_fma_f16 v26, v29, s0, v26
	v_add_f16_e32 v29, v28, v42
	v_add_f16_e32 v31, v42, v44
	ds_write2_b32 v111, v4, v0 offset0:28 offset1:118
	v_pack_b32_f16 v0, v20, v22
	v_pack_b32_f16 v3, v24, v27
	v_add_f16_e32 v25, v25, v39
	v_add_f16_e32 v6, v6, v40
	;; [unrolled: 1-line block ×3, first 2 shown]
	v_fma_f16 v28, v31, -0.5, v28
	v_add_f16_e32 v7, v7, v43
	v_sub_f16_e32 v31, v41, v43
	v_pack_b32_f16 v2, v14, v16
	v_pack_b32_f16 v8, v8, v17
	v_pack_b32_f16 v1, v15, v18
	ds_write2_b32 v139, v0, v3 offset0:122 offset1:212
	v_pack_b32_f16 v0, v21, v23
	v_fma_f16 v32, v31, s0, v28
	ds_write2_b32 v108, v2, v8 offset0:70 offset1:160
	v_pack_b32_f16 v2, v6, v25
	ds_write2_b32 v106, v1, v0 offset0:126 offset1:216
	v_pack_b32_f16 v0, v7, v29
	v_fma_f16 v28, v31, s1, v28
	ds_write2_b32 v100, v2, v0 offset0:80 offset1:170
	v_pack_b32_f16 v0, v30, v32
	ds_write_b32 v134, v0 offset:6840
	v_pack_b32_f16 v0, v26, v28
	ds_write_b32 v134, v0 offset:10440
	s_waitcnt lgkmcnt(0)
	s_barrier
	ds_read2_b32 v[0:1], v134 offset1:90
	s_waitcnt lgkmcnt(0)
	v_lshrrev_b32_e32 v8, 16, v0
	v_mul_f16_sdwa v2, v133, v8 dst_sel:DWORD dst_unused:UNUSED_PAD src0_sel:WORD_1 src1_sel:DWORD
	v_fma_f16 v2, v133, v0, v2
	v_cvt_f32_f16_e32 v4, v2
	v_mad_u64_u32 v[2:3], s[0:1], s10, v48, 0
	v_mul_f16_sdwa v0, v133, v0 dst_sel:DWORD dst_unused:UNUSED_PAD src0_sel:WORD_1 src1_sel:DWORD
	v_cvt_f64_f32_e32 v[4:5], v4
	v_fma_f16 v0, v133, v8, -v0
	s_movk_i32 s10, 0x40f
	v_mul_f64 v[4:5], v[4:5], s[2:3]
	v_mad_u64_u32 v[6:7], s[0:1], s11, v48, v[3:4]
	v_and_or_b32 v4, v5, s6, v4
	v_cmp_ne_u32_e32 vcc, 0, v4
	v_mov_b32_e32 v3, v6
	v_cndmask_b32_e64 v4, 0, 1, vcc
	v_lshrrev_b32_e32 v6, 8, v5
	v_bfe_u32 v7, v5, 20, 11
	v_and_or_b32 v4, v6, s7, v4
	v_sub_u32_e32 v9, 0x3f1, v7
	v_or_b32_e32 v6, 0x1000, v4
	v_med3_i32 v9, v9, 0, 13
	v_lshrrev_b32_e32 v10, v9, v6
	v_lshlrev_b32_e32 v9, v9, v10
	v_cmp_ne_u32_e32 vcc, v9, v6
	v_cndmask_b32_e64 v6, 0, 1, vcc
	v_add_u32_e32 v9, 0xfffffc10, v7
	v_or_b32_e32 v6, v10, v6
	v_lshl_or_b32 v7, v9, 12, v4
	v_cmp_gt_i32_e32 vcc, 1, v9
	v_cndmask_b32_e32 v6, v7, v6, vcc
	v_and_b32_e32 v7, 7, v6
	v_cmp_lt_i32_e32 vcc, 5, v7
	v_cmp_eq_u32_e64 s[0:1], 3, v7
	v_cvt_f32_f16_e32 v7, v0
	v_lshrrev_b32_e32 v6, 2, v6
	s_or_b64 vcc, s[0:1], vcc
	v_addc_co_u32_e32 v8, vcc, 0, v6, vcc
	v_cvt_f64_f32_e32 v[6:7], v7
	v_mov_b32_e32 v0, 0x7c00
	v_cmp_gt_i32_e32 vcc, 31, v9
	v_cndmask_b32_e32 v8, v0, v8, vcc
	v_mul_f64 v[6:7], v[6:7], s[2:3]
	v_cmp_ne_u32_e32 vcc, 0, v4
	v_cndmask_b32_e64 v4, 0, 1, vcc
	v_lshl_or_b32 v4, v4, 9, v0
	v_cmp_eq_u32_e32 vcc, s10, v9
	v_cndmask_b32_e32 v4, v8, v4, vcc
	v_lshrrev_b32_e32 v5, 16, v5
	s_mov_b32 s11, 0x8000
	v_and_or_b32 v10, v5, s11, v4
	v_and_or_b32 v4, v7, s6, v6
	v_cmp_ne_u32_e32 vcc, 0, v4
	v_cndmask_b32_e64 v4, 0, 1, vcc
	v_lshrrev_b32_e32 v5, 8, v7
	v_bfe_u32 v6, v7, 20, 11
	v_and_or_b32 v4, v5, s7, v4
	v_sub_u32_e32 v8, 0x3f1, v6
	v_or_b32_e32 v5, 0x1000, v4
	v_med3_i32 v8, v8, 0, 13
	v_lshrrev_b32_e32 v9, v8, v5
	v_lshlrev_b32_e32 v8, v8, v9
	v_cmp_ne_u32_e32 vcc, v8, v5
	v_cndmask_b32_e64 v5, 0, 1, vcc
	v_add_u32_e32 v6, 0xfffffc10, v6
	v_or_b32_e32 v5, v9, v5
	v_lshl_or_b32 v8, v6, 12, v4
	v_cmp_gt_i32_e32 vcc, 1, v6
	v_cndmask_b32_e32 v5, v8, v5, vcc
	v_and_b32_e32 v8, 7, v5
	v_cmp_lt_i32_e32 vcc, 5, v8
	v_cmp_eq_u32_e64 s[0:1], 3, v8
	v_lshrrev_b32_e32 v5, 2, v5
	s_or_b64 vcc, s[0:1], vcc
	v_addc_co_u32_e32 v5, vcc, 0, v5, vcc
	v_cmp_gt_i32_e32 vcc, 31, v6
	v_cndmask_b32_e32 v8, v0, v5, vcc
	v_cmp_ne_u32_e32 vcc, 0, v4
	v_cndmask_b32_e64 v4, 0, 1, vcc
	v_lshl_or_b32 v9, v4, 9, v0
	v_cmp_eq_u32_e32 vcc, s10, v6
	v_cndmask_b32_e32 v11, v8, v9, vcc
	ds_read2_b32 v[8:9], v136 offset0:132 offset1:222
	v_mad_u64_u32 v[4:5], s[0:1], s8, v130, 0
	v_lshrrev_b32_e32 v7, 16, v7
	v_and_or_b32 v11, v7, s11, v11
	v_mad_u64_u32 v[5:6], s[0:1], s9, v130, v[5:6]
	s_waitcnt lgkmcnt(0)
	v_lshrrev_b32_e32 v12, 16, v8
	v_mul_f16_sdwa v6, v129, v12 dst_sel:DWORD dst_unused:UNUSED_PAD src0_sel:WORD_1 src1_sel:DWORD
	v_fma_f16 v6, v129, v8, v6
	v_cvt_f32_f16_e32 v6, v6
	v_lshlrev_b64 v[2:3], 2, v[2:3]
	v_and_b32_e32 v10, 0xffff, v10
	v_lshl_or_b32 v10, v11, 16, v10
	v_cvt_f64_f32_e32 v[6:7], v6
	v_mov_b32_e32 v11, s5
	v_add_co_u32_e32 v13, vcc, s4, v2
	v_mul_f64 v[6:7], v[6:7], s[2:3]
	v_addc_co_u32_e32 v11, vcc, v11, v3, vcc
	v_lshlrev_b64 v[2:3], 2, v[4:5]
	v_mul_f16_sdwa v8, v129, v8 dst_sel:DWORD dst_unused:UNUSED_PAD src0_sel:WORD_1 src1_sel:DWORD
	v_add_co_u32_e32 v2, vcc, v13, v2
	v_addc_co_u32_e32 v3, vcc, v11, v3, vcc
	v_and_or_b32 v4, v7, s6, v6
	v_cmp_ne_u32_e32 vcc, 0, v4
	v_cndmask_b32_e64 v4, 0, 1, vcc
	v_lshrrev_b32_e32 v5, 8, v7
	v_and_or_b32 v6, v5, s7, v4
	v_bfe_u32 v5, v7, 20, 11
	global_store_dword v[2:3], v10, off
	v_sub_u32_e32 v10, 0x3f1, v5
	v_or_b32_e32 v4, 0x1000, v6
	v_med3_i32 v10, v10, 0, 13
	v_lshrrev_b32_e32 v11, v10, v4
	v_lshlrev_b32_e32 v10, v10, v11
	v_cmp_ne_u32_e32 vcc, v10, v4
	v_fma_f16 v8, v129, v12, -v8
	v_cndmask_b32_e64 v4, 0, 1, vcc
	v_add_u32_e32 v10, 0xfffffc10, v5
	v_cvt_f32_f16_e32 v8, v8
	v_or_b32_e32 v4, v11, v4
	v_lshl_or_b32 v5, v10, 12, v6
	v_cmp_gt_i32_e32 vcc, 1, v10
	v_cndmask_b32_e32 v4, v5, v4, vcc
	v_and_b32_e32 v5, 7, v4
	v_cmp_lt_i32_e32 vcc, 5, v5
	v_cmp_eq_u32_e64 s[0:1], 3, v5
	v_lshrrev_b32_e32 v11, 2, v4
	v_cvt_f64_f32_e32 v[4:5], v8
	s_or_b64 vcc, s[0:1], vcc
	v_addc_co_u32_e32 v8, vcc, 0, v11, vcc
	v_mul_f64 v[4:5], v[4:5], s[2:3]
	v_cmp_gt_i32_e32 vcc, 31, v10
	v_cndmask_b32_e32 v8, v0, v8, vcc
	v_cmp_ne_u32_e32 vcc, 0, v6
	v_cndmask_b32_e64 v6, 0, 1, vcc
	v_lshl_or_b32 v6, v6, 9, v0
	v_cmp_eq_u32_e32 vcc, s10, v10
	v_cndmask_b32_e32 v6, v8, v6, vcc
	v_and_or_b32 v4, v5, s6, v4
	v_lshrrev_b32_e32 v7, 16, v7
	v_cmp_ne_u32_e32 vcc, 0, v4
	v_and_or_b32 v8, v7, s11, v6
	v_cndmask_b32_e64 v4, 0, 1, vcc
	v_lshrrev_b32_e32 v6, 8, v5
	v_bfe_u32 v7, v5, 20, 11
	v_and_or_b32 v4, v6, s7, v4
	v_sub_u32_e32 v10, 0x3f1, v7
	v_or_b32_e32 v6, 0x1000, v4
	v_med3_i32 v10, v10, 0, 13
	v_lshrrev_b32_e32 v11, v10, v6
	v_lshlrev_b32_e32 v10, v10, v11
	v_cmp_ne_u32_e32 vcc, v10, v6
	v_cndmask_b32_e64 v6, 0, 1, vcc
	v_add_u32_e32 v10, 0xfffffc10, v7
	v_or_b32_e32 v6, v11, v6
	v_lshl_or_b32 v7, v10, 12, v4
	v_cmp_gt_i32_e32 vcc, 1, v10
	v_cndmask_b32_e32 v6, v7, v6, vcc
	v_and_b32_e32 v7, 7, v6
	v_cmp_lt_i32_e32 vcc, 5, v7
	v_cmp_eq_u32_e64 s[0:1], 3, v7
	v_lshrrev_b32_e32 v6, 2, v6
	s_or_b64 vcc, s[0:1], vcc
	v_addc_co_u32_e32 v6, vcc, 0, v6, vcc
	v_cmp_gt_i32_e32 vcc, 31, v10
	v_cndmask_b32_e32 v11, v0, v6, vcc
	ds_read2_b32 v[6:7], v135 offset0:8 offset1:98
	v_cmp_ne_u32_e32 vcc, 0, v4
	v_cndmask_b32_e64 v4, 0, 1, vcc
	v_lshl_or_b32 v4, v4, 9, v0
	v_cmp_eq_u32_e32 vcc, s10, v10
	s_waitcnt lgkmcnt(0)
	v_lshrrev_b32_e32 v10, 16, v6
	v_cndmask_b32_e32 v4, v11, v4, vcc
	v_mul_f16_sdwa v11, v127, v10 dst_sel:DWORD dst_unused:UNUSED_PAD src0_sel:WORD_1 src1_sel:DWORD
	v_fma_f16 v11, v127, v6, v11
	v_cvt_f32_f16_e32 v11, v11
	v_lshrrev_b32_e32 v5, 16, v5
	v_and_or_b32 v4, v5, s11, v4
	v_and_b32_e32 v5, 0xffff, v8
	v_lshl_or_b32 v8, v4, 16, v5
	v_cvt_f64_f32_e32 v[4:5], v11
	s_mul_i32 s0, s9, 0xe10
	s_mul_hi_u32 s4, s8, 0xe10
	s_add_i32 s4, s4, s0
	v_mul_f64 v[4:5], v[4:5], s[2:3]
	s_mul_i32 s5, s8, 0xe10
	v_mov_b32_e32 v11, s4
	v_add_co_u32_e32 v2, vcc, s5, v2
	v_addc_co_u32_e32 v3, vcc, v3, v11, vcc
	global_store_dword v[2:3], v8, off
	v_and_or_b32 v4, v5, s6, v4
	v_cmp_ne_u32_e32 vcc, 0, v4
	v_cndmask_b32_e64 v4, 0, 1, vcc
	v_lshrrev_b32_e32 v8, 8, v5
	v_bfe_u32 v11, v5, 20, 11
	v_and_or_b32 v4, v8, s7, v4
	v_sub_u32_e32 v12, 0x3f1, v11
	v_or_b32_e32 v8, 0x1000, v4
	v_med3_i32 v12, v12, 0, 13
	v_lshrrev_b32_e32 v13, v12, v8
	v_lshlrev_b32_e32 v12, v12, v13
	v_mul_f16_sdwa v6, v127, v6 dst_sel:DWORD dst_unused:UNUSED_PAD src0_sel:WORD_1 src1_sel:DWORD
	v_cmp_ne_u32_e32 vcc, v12, v8
	v_fma_f16 v6, v127, v10, -v6
	v_cndmask_b32_e64 v8, 0, 1, vcc
	v_add_u32_e32 v12, 0xfffffc10, v11
	v_cvt_f32_f16_e32 v6, v6
	v_or_b32_e32 v8, v13, v8
	v_lshl_or_b32 v11, v12, 12, v4
	v_cmp_gt_i32_e32 vcc, 1, v12
	v_cndmask_b32_e32 v8, v11, v8, vcc
	v_and_b32_e32 v11, 7, v8
	v_cmp_lt_i32_e32 vcc, 5, v11
	v_cmp_eq_u32_e64 s[0:1], 3, v11
	v_cvt_f64_f32_e32 v[10:11], v6
	v_lshrrev_b32_e32 v8, 2, v8
	s_or_b64 vcc, s[0:1], vcc
	v_addc_co_u32_e32 v6, vcc, 0, v8, vcc
	v_mul_f64 v[10:11], v[10:11], s[2:3]
	v_cmp_gt_i32_e32 vcc, 31, v12
	v_cndmask_b32_e32 v6, v0, v6, vcc
	v_cmp_ne_u32_e32 vcc, 0, v4
	v_cndmask_b32_e64 v4, 0, 1, vcc
	v_lshl_or_b32 v4, v4, 9, v0
	v_cmp_eq_u32_e32 vcc, s10, v12
	v_cndmask_b32_e32 v4, v6, v4, vcc
	v_lshrrev_b32_e32 v5, 16, v5
	v_and_or_b32 v6, v5, s11, v4
	v_and_or_b32 v4, v11, s6, v10
	v_cmp_ne_u32_e32 vcc, 0, v4
	v_cndmask_b32_e64 v4, 0, 1, vcc
	v_lshrrev_b32_e32 v5, 8, v11
	v_bfe_u32 v8, v11, 20, 11
	v_and_or_b32 v4, v5, s7, v4
	v_sub_u32_e32 v10, 0x3f1, v8
	v_or_b32_e32 v5, 0x1000, v4
	v_med3_i32 v10, v10, 0, 13
	v_lshrrev_b32_e32 v12, v10, v5
	v_lshlrev_b32_e32 v10, v10, v12
	v_cmp_ne_u32_e32 vcc, v10, v5
	v_cndmask_b32_e64 v5, 0, 1, vcc
	v_add_u32_e32 v8, 0xfffffc10, v8
	v_or_b32_e32 v5, v12, v5
	v_lshl_or_b32 v10, v8, 12, v4
	v_cmp_gt_i32_e32 vcc, 1, v8
	v_cndmask_b32_e32 v5, v10, v5, vcc
	v_and_b32_e32 v10, 7, v5
	v_cmp_lt_i32_e32 vcc, 5, v10
	v_cmp_eq_u32_e64 s[0:1], 3, v10
	v_lshrrev_b32_e32 v10, 16, v1
	v_lshrrev_b32_e32 v5, 2, v5
	s_or_b64 vcc, s[0:1], vcc
	v_mul_f16_sdwa v12, v126, v10 dst_sel:DWORD dst_unused:UNUSED_PAD src0_sel:WORD_1 src1_sel:DWORD
	v_addc_co_u32_e32 v5, vcc, 0, v5, vcc
	v_fma_f16 v12, v126, v1, v12
	v_cmp_gt_i32_e32 vcc, 31, v8
	v_cvt_f32_f16_e32 v12, v12
	v_cndmask_b32_e32 v5, v0, v5, vcc
	v_cmp_ne_u32_e32 vcc, 0, v4
	v_cndmask_b32_e64 v4, 0, 1, vcc
	v_lshl_or_b32 v4, v4, 9, v0
	v_cmp_eq_u32_e32 vcc, s10, v8
	v_cndmask_b32_e32 v8, v5, v4, vcc
	v_cvt_f64_f32_e32 v[4:5], v12
	v_lshrrev_b32_e32 v11, 16, v11
	v_and_or_b32 v8, v11, s11, v8
	v_and_b32_e32 v6, 0xffff, v6
	v_mul_f64 v[4:5], v[4:5], s[2:3]
	v_lshl_or_b32 v6, v8, 16, v6
	v_mov_b32_e32 v8, s4
	v_add_co_u32_e32 v2, vcc, s5, v2
	v_addc_co_u32_e32 v3, vcc, v3, v8, vcc
	global_store_dword v[2:3], v6, off
	v_and_or_b32 v4, v5, s6, v4
	v_cmp_ne_u32_e32 vcc, 0, v4
	v_cndmask_b32_e64 v4, 0, 1, vcc
	v_lshrrev_b32_e32 v6, 8, v5
	v_bfe_u32 v8, v5, 20, 11
	v_and_or_b32 v4, v6, s7, v4
	v_sub_u32_e32 v11, 0x3f1, v8
	v_or_b32_e32 v6, 0x1000, v4
	v_med3_i32 v11, v11, 0, 13
	v_lshrrev_b32_e32 v12, v11, v6
	v_lshlrev_b32_e32 v11, v11, v12
	v_mul_f16_sdwa v1, v126, v1 dst_sel:DWORD dst_unused:UNUSED_PAD src0_sel:WORD_1 src1_sel:DWORD
	v_cmp_ne_u32_e32 vcc, v11, v6
	v_fma_f16 v1, v126, v10, -v1
	v_cndmask_b32_e64 v6, 0, 1, vcc
	v_add_u32_e32 v8, 0xfffffc10, v8
	v_cvt_f32_f16_e32 v1, v1
	v_or_b32_e32 v6, v12, v6
	v_lshl_or_b32 v11, v8, 12, v4
	v_cmp_gt_i32_e32 vcc, 1, v8
	v_cndmask_b32_e32 v6, v11, v6, vcc
	v_and_b32_e32 v11, 7, v6
	v_cmp_lt_i32_e32 vcc, 5, v11
	v_cmp_eq_u32_e64 s[0:1], 3, v11
	v_cvt_f64_f32_e32 v[10:11], v1
	v_lshrrev_b32_e32 v6, 2, v6
	s_or_b64 vcc, s[0:1], vcc
	v_addc_co_u32_e32 v1, vcc, 0, v6, vcc
	v_mul_f64 v[10:11], v[10:11], s[2:3]
	v_cmp_gt_i32_e32 vcc, 31, v8
	v_cndmask_b32_e32 v1, v0, v1, vcc
	v_cmp_ne_u32_e32 vcc, 0, v4
	v_cndmask_b32_e64 v4, 0, 1, vcc
	v_lshl_or_b32 v4, v4, 9, v0
	v_cmp_eq_u32_e32 vcc, s10, v8
	v_cndmask_b32_e32 v1, v1, v4, vcc
	v_lshrrev_b32_e32 v4, 16, v5
	v_and_or_b32 v1, v4, s11, v1
	v_and_or_b32 v4, v11, s6, v10
	v_cmp_ne_u32_e32 vcc, 0, v4
	v_cndmask_b32_e64 v4, 0, 1, vcc
	v_lshrrev_b32_e32 v5, 8, v11
	v_bfe_u32 v6, v11, 20, 11
	v_and_or_b32 v4, v5, s7, v4
	v_sub_u32_e32 v8, 0x3f1, v6
	v_or_b32_e32 v5, 0x1000, v4
	v_med3_i32 v8, v8, 0, 13
	v_lshrrev_b32_e32 v10, v8, v5
	v_lshlrev_b32_e32 v8, v8, v10
	v_cmp_ne_u32_e32 vcc, v8, v5
	v_cndmask_b32_e64 v5, 0, 1, vcc
	v_add_u32_e32 v6, 0xfffffc10, v6
	v_or_b32_e32 v5, v10, v5
	v_lshl_or_b32 v8, v6, 12, v4
	v_cmp_gt_i32_e32 vcc, 1, v6
	v_cndmask_b32_e32 v5, v8, v5, vcc
	v_and_b32_e32 v8, 7, v5
	v_cmp_lt_i32_e32 vcc, 5, v8
	v_cmp_eq_u32_e64 s[0:1], 3, v8
	v_lshrrev_b32_e32 v5, 2, v5
	s_or_b64 vcc, s[0:1], vcc
	v_addc_co_u32_e32 v5, vcc, 0, v5, vcc
	v_cmp_gt_i32_e32 vcc, 31, v6
	v_cndmask_b32_e32 v5, v0, v5, vcc
	v_cmp_ne_u32_e32 vcc, 0, v4
	v_cndmask_b32_e64 v4, 0, 1, vcc
	v_lshl_or_b32 v4, v4, 9, v0
	v_cmp_eq_u32_e32 vcc, s10, v6
	v_cndmask_b32_e32 v4, v5, v4, vcc
	v_lshrrev_b32_e32 v5, 16, v11
	v_lshrrev_b32_e32 v6, 16, v9
	v_and_or_b32 v4, v5, s11, v4
	v_mul_f16_sdwa v5, v124, v6 dst_sel:DWORD dst_unused:UNUSED_PAD src0_sel:WORD_1 src1_sel:DWORD
	v_fma_f16 v5, v124, v9, v5
	v_cvt_f32_f16_e32 v5, v5
	v_and_b32_e32 v1, 0xffff, v1
	v_lshl_or_b32 v8, v4, 16, v1
	s_mul_hi_u32 s1, s8, 0xffffe548
	v_cvt_f64_f32_e32 v[4:5], v5
	s_mul_i32 s0, s9, 0xffffe548
	s_sub_i32 s9, s1, s8
	s_add_i32 s9, s9, s0
	v_mul_f64 v[4:5], v[4:5], s[2:3]
	s_mulk_i32 s8, 0xe548
	v_mov_b32_e32 v10, s9
	v_add_co_u32_e32 v1, vcc, s8, v2
	v_addc_co_u32_e32 v2, vcc, v3, v10, vcc
	global_store_dword v[1:2], v8, off
	v_and_or_b32 v3, v5, s6, v4
	v_cmp_ne_u32_e32 vcc, 0, v3
	v_cndmask_b32_e64 v3, 0, 1, vcc
	v_lshrrev_b32_e32 v4, 8, v5
	v_and_or_b32 v8, v4, s7, v3
	v_bfe_u32 v4, v5, 20, 11
	v_sub_u32_e32 v10, 0x3f1, v4
	v_or_b32_e32 v3, 0x1000, v8
	v_med3_i32 v10, v10, 0, 13
	v_lshrrev_b32_e32 v11, v10, v3
	v_lshlrev_b32_e32 v10, v10, v11
	v_mul_f16_sdwa v9, v124, v9 dst_sel:DWORD dst_unused:UNUSED_PAD src0_sel:WORD_1 src1_sel:DWORD
	v_cmp_ne_u32_e32 vcc, v10, v3
	v_fma_f16 v6, v124, v6, -v9
	v_cndmask_b32_e64 v3, 0, 1, vcc
	v_add_u32_e32 v10, 0xfffffc10, v4
	v_cvt_f32_f16_e32 v6, v6
	v_or_b32_e32 v3, v11, v3
	v_lshl_or_b32 v4, v10, 12, v8
	v_cmp_gt_i32_e32 vcc, 1, v10
	v_cndmask_b32_e32 v3, v4, v3, vcc
	v_and_b32_e32 v4, 7, v3
	v_cmp_lt_i32_e32 vcc, 5, v4
	v_cmp_eq_u32_e64 s[0:1], 3, v4
	v_lshrrev_b32_e32 v9, 2, v3
	v_cvt_f64_f32_e32 v[3:4], v6
	s_or_b64 vcc, s[0:1], vcc
	v_addc_co_u32_e32 v6, vcc, 0, v9, vcc
	v_mul_f64 v[3:4], v[3:4], s[2:3]
	v_cmp_gt_i32_e32 vcc, 31, v10
	v_cndmask_b32_e32 v6, v0, v6, vcc
	v_cmp_ne_u32_e32 vcc, 0, v8
	v_cndmask_b32_e64 v8, 0, 1, vcc
	v_lshl_or_b32 v8, v8, 9, v0
	v_cmp_eq_u32_e32 vcc, s10, v10
	v_cndmask_b32_e32 v6, v6, v8, vcc
	v_and_or_b32 v3, v4, s6, v3
	v_lshrrev_b32_e32 v5, 16, v5
	v_cmp_ne_u32_e32 vcc, 0, v3
	v_and_or_b32 v8, v5, s11, v6
	v_cndmask_b32_e64 v3, 0, 1, vcc
	v_lshrrev_b32_e32 v5, 8, v4
	v_bfe_u32 v6, v4, 20, 11
	v_and_or_b32 v3, v5, s7, v3
	v_sub_u32_e32 v9, 0x3f1, v6
	v_or_b32_e32 v5, 0x1000, v3
	v_med3_i32 v9, v9, 0, 13
	v_lshrrev_b32_e32 v10, v9, v5
	v_lshlrev_b32_e32 v9, v9, v10
	v_cmp_ne_u32_e32 vcc, v9, v5
	v_cndmask_b32_e64 v5, 0, 1, vcc
	v_add_u32_e32 v6, 0xfffffc10, v6
	v_or_b32_e32 v5, v10, v5
	v_lshl_or_b32 v9, v6, 12, v3
	v_cmp_gt_i32_e32 vcc, 1, v6
	v_cndmask_b32_e32 v5, v9, v5, vcc
	v_and_b32_e32 v9, 7, v5
	v_cmp_lt_i32_e32 vcc, 5, v9
	v_cmp_eq_u32_e64 s[0:1], 3, v9
	v_lshrrev_b32_e32 v9, 16, v7
	v_lshrrev_b32_e32 v5, 2, v5
	s_or_b64 vcc, s[0:1], vcc
	v_mul_f16_sdwa v10, v123, v9 dst_sel:DWORD dst_unused:UNUSED_PAD src0_sel:WORD_1 src1_sel:DWORD
	v_addc_co_u32_e32 v5, vcc, 0, v5, vcc
	v_fma_f16 v10, v123, v7, v10
	v_cmp_gt_i32_e32 vcc, 31, v6
	v_cvt_f32_f16_e32 v10, v10
	v_cndmask_b32_e32 v5, v0, v5, vcc
	v_cmp_ne_u32_e32 vcc, 0, v3
	v_cndmask_b32_e64 v3, 0, 1, vcc
	v_lshl_or_b32 v3, v3, 9, v0
	v_cmp_eq_u32_e32 vcc, s10, v6
	v_cndmask_b32_e32 v3, v5, v3, vcc
	v_cvt_f64_f32_e32 v[5:6], v10
	v_lshrrev_b32_e32 v4, 16, v4
	v_and_or_b32 v10, v4, s11, v3
	v_add_co_u32_e32 v1, vcc, s5, v1
	v_mul_f64 v[3:4], v[5:6], s[2:3]
	v_mov_b32_e32 v6, s4
	v_and_b32_e32 v8, 0xffff, v8
	v_addc_co_u32_e32 v2, vcc, v2, v6, vcc
	v_lshl_or_b32 v5, v10, 16, v8
	global_store_dword v[1:2], v5, off
	v_mul_f16_sdwa v7, v123, v7 dst_sel:DWORD dst_unused:UNUSED_PAD src0_sel:WORD_1 src1_sel:DWORD
	v_and_or_b32 v3, v4, s6, v3
	v_cmp_ne_u32_e32 vcc, 0, v3
	v_cndmask_b32_e64 v3, 0, 1, vcc
	v_lshrrev_b32_e32 v5, 8, v4
	v_bfe_u32 v6, v4, 20, 11
	v_and_or_b32 v3, v5, s7, v3
	v_sub_u32_e32 v8, 0x3f1, v6
	v_or_b32_e32 v5, 0x1000, v3
	v_med3_i32 v8, v8, 0, 13
	v_lshrrev_b32_e32 v10, v8, v5
	v_lshlrev_b32_e32 v8, v8, v10
	v_cmp_ne_u32_e32 vcc, v8, v5
	v_fma_f16 v7, v123, v9, -v7
	v_cndmask_b32_e64 v5, 0, 1, vcc
	v_add_u32_e32 v8, 0xfffffc10, v6
	v_cvt_f32_f16_e32 v7, v7
	v_or_b32_e32 v5, v10, v5
	v_lshl_or_b32 v6, v8, 12, v3
	v_cmp_gt_i32_e32 vcc, 1, v8
	v_cndmask_b32_e32 v5, v6, v5, vcc
	v_and_b32_e32 v6, 7, v5
	v_cmp_lt_i32_e32 vcc, 5, v6
	v_cmp_eq_u32_e64 s[0:1], 3, v6
	v_lshrrev_b32_e32 v9, 2, v5
	v_cvt_f64_f32_e32 v[5:6], v7
	s_or_b64 vcc, s[0:1], vcc
	v_addc_co_u32_e32 v7, vcc, 0, v9, vcc
	v_mul_f64 v[5:6], v[5:6], s[2:3]
	v_cmp_gt_i32_e32 vcc, 31, v8
	v_cndmask_b32_e32 v7, v0, v7, vcc
	v_cmp_ne_u32_e32 vcc, 0, v3
	v_cndmask_b32_e64 v3, 0, 1, vcc
	v_lshl_or_b32 v3, v3, 9, v0
	v_cmp_eq_u32_e32 vcc, s10, v8
	v_cndmask_b32_e32 v3, v7, v3, vcc
	v_lshrrev_b32_e32 v4, 16, v4
	v_and_or_b32 v9, v4, s11, v3
	v_and_or_b32 v3, v6, s6, v5
	v_cmp_ne_u32_e32 vcc, 0, v3
	v_cndmask_b32_e64 v3, 0, 1, vcc
	v_lshrrev_b32_e32 v4, 8, v6
	v_and_or_b32 v5, v4, s7, v3
	v_bfe_u32 v4, v6, 20, 11
	v_sub_u32_e32 v7, 0x3f1, v4
	v_or_b32_e32 v3, 0x1000, v5
	v_med3_i32 v7, v7, 0, 13
	v_lshrrev_b32_e32 v8, v7, v3
	v_lshlrev_b32_e32 v7, v7, v8
	v_cmp_ne_u32_e32 vcc, v7, v3
	v_cndmask_b32_e64 v3, 0, 1, vcc
	v_add_u32_e32 v7, 0xfffffc10, v4
	v_or_b32_e32 v3, v8, v3
	v_lshl_or_b32 v4, v7, 12, v5
	v_cmp_gt_i32_e32 vcc, 1, v7
	v_cndmask_b32_e32 v3, v4, v3, vcc
	v_and_b32_e32 v4, 7, v3
	v_cmp_lt_i32_e32 vcc, 5, v4
	v_cmp_eq_u32_e64 s[0:1], 3, v4
	v_lshrrev_b32_e32 v3, 2, v3
	s_or_b64 vcc, s[0:1], vcc
	v_addc_co_u32_e32 v8, vcc, 0, v3, vcc
	ds_read2_b32 v[3:4], v132 offset0:52 offset1:142
	v_cmp_gt_i32_e32 vcc, 31, v7
	v_cndmask_b32_e32 v8, v0, v8, vcc
	v_cmp_ne_u32_e32 vcc, 0, v5
	v_cndmask_b32_e64 v5, 0, 1, vcc
	s_waitcnt lgkmcnt(0)
	v_lshrrev_b32_e32 v10, 16, v3
	v_mul_f16_sdwa v11, v120, v10 dst_sel:DWORD dst_unused:UNUSED_PAD src0_sel:WORD_1 src1_sel:DWORD
	v_fma_f16 v11, v120, v3, v11
	v_cvt_f32_f16_e32 v11, v11
	v_lshl_or_b32 v5, v5, 9, v0
	v_cmp_eq_u32_e32 vcc, s10, v7
	v_cndmask_b32_e32 v5, v8, v5, vcc
	v_cvt_f64_f32_e32 v[7:8], v11
	v_lshrrev_b32_e32 v6, 16, v6
	v_and_or_b32 v11, v6, s11, v5
	v_add_co_u32_e32 v1, vcc, s5, v1
	v_mul_f64 v[5:6], v[7:8], s[2:3]
	v_mov_b32_e32 v8, s4
	v_and_b32_e32 v9, 0xffff, v9
	v_addc_co_u32_e32 v2, vcc, v2, v8, vcc
	v_lshl_or_b32 v7, v11, 16, v9
	global_store_dword v[1:2], v7, off
	v_mul_f16_sdwa v3, v120, v3 dst_sel:DWORD dst_unused:UNUSED_PAD src0_sel:WORD_1 src1_sel:DWORD
	v_and_or_b32 v5, v6, s6, v5
	v_cmp_ne_u32_e32 vcc, 0, v5
	v_cndmask_b32_e64 v5, 0, 1, vcc
	v_lshrrev_b32_e32 v7, 8, v6
	v_bfe_u32 v8, v6, 20, 11
	v_and_or_b32 v5, v7, s7, v5
	v_sub_u32_e32 v9, 0x3f1, v8
	v_or_b32_e32 v7, 0x1000, v5
	v_med3_i32 v9, v9, 0, 13
	v_lshrrev_b32_e32 v11, v9, v7
	v_lshlrev_b32_e32 v9, v9, v11
	v_cmp_ne_u32_e32 vcc, v9, v7
	v_fma_f16 v3, v120, v10, -v3
	v_cndmask_b32_e64 v7, 0, 1, vcc
	v_add_u32_e32 v9, 0xfffffc10, v8
	v_cvt_f32_f16_e32 v3, v3
	v_or_b32_e32 v7, v11, v7
	v_lshl_or_b32 v8, v9, 12, v5
	v_cmp_gt_i32_e32 vcc, 1, v9
	v_cndmask_b32_e32 v7, v8, v7, vcc
	v_and_b32_e32 v8, 7, v7
	v_cmp_lt_i32_e32 vcc, 5, v8
	v_cmp_eq_u32_e64 s[0:1], 3, v8
	v_lshrrev_b32_e32 v10, 2, v7
	v_cvt_f64_f32_e32 v[7:8], v3
	s_or_b64 vcc, s[0:1], vcc
	v_addc_co_u32_e32 v3, vcc, 0, v10, vcc
	v_mul_f64 v[7:8], v[7:8], s[2:3]
	v_cmp_gt_i32_e32 vcc, 31, v9
	v_cndmask_b32_e32 v3, v0, v3, vcc
	v_cmp_ne_u32_e32 vcc, 0, v5
	v_cndmask_b32_e64 v5, 0, 1, vcc
	v_lshl_or_b32 v5, v5, 9, v0
	v_cmp_eq_u32_e32 vcc, s10, v9
	v_cndmask_b32_e32 v3, v3, v5, vcc
	v_lshrrev_b32_e32 v5, 16, v6
	v_and_or_b32 v3, v5, s11, v3
	v_and_or_b32 v5, v8, s6, v7
	v_cmp_ne_u32_e32 vcc, 0, v5
	v_cndmask_b32_e64 v5, 0, 1, vcc
	v_lshrrev_b32_e32 v6, 8, v8
	v_and_or_b32 v7, v6, s7, v5
	v_bfe_u32 v6, v8, 20, 11
	v_sub_u32_e32 v9, 0x3f1, v6
	v_or_b32_e32 v5, 0x1000, v7
	v_med3_i32 v9, v9, 0, 13
	v_lshrrev_b32_e32 v10, v9, v5
	v_lshlrev_b32_e32 v9, v9, v10
	v_cmp_ne_u32_e32 vcc, v9, v5
	v_cndmask_b32_e64 v5, 0, 1, vcc
	v_add_u32_e32 v9, 0xfffffc10, v6
	v_or_b32_e32 v5, v10, v5
	v_lshl_or_b32 v6, v9, 12, v7
	v_cmp_gt_i32_e32 vcc, 1, v9
	v_cndmask_b32_e32 v5, v6, v5, vcc
	v_and_b32_e32 v6, 7, v5
	v_cmp_lt_i32_e32 vcc, 5, v6
	v_cmp_eq_u32_e64 s[0:1], 3, v6
	v_lshrrev_b32_e32 v5, 2, v5
	s_or_b64 vcc, s[0:1], vcc
	v_addc_co_u32_e32 v10, vcc, 0, v5, vcc
	ds_read2_b32 v[5:6], v128 offset0:56 offset1:146
	v_cmp_gt_i32_e32 vcc, 31, v9
	v_cndmask_b32_e32 v10, v0, v10, vcc
	v_cmp_ne_u32_e32 vcc, 0, v7
	v_cndmask_b32_e64 v7, 0, 1, vcc
	s_waitcnt lgkmcnt(0)
	v_lshrrev_b32_e32 v11, 16, v5
	v_mul_f16_sdwa v12, v125, v11 dst_sel:DWORD dst_unused:UNUSED_PAD src0_sel:WORD_1 src1_sel:DWORD
	v_fma_f16 v12, v125, v5, v12
	v_cvt_f32_f16_e32 v12, v12
	v_lshl_or_b32 v7, v7, 9, v0
	v_cmp_eq_u32_e32 vcc, s10, v9
	v_cndmask_b32_e32 v7, v10, v7, vcc
	v_cvt_f64_f32_e32 v[9:10], v12
	v_lshrrev_b32_e32 v8, 16, v8
	v_and_or_b32 v12, v8, s11, v7
	v_and_b32_e32 v3, 0xffff, v3
	v_mul_f64 v[7:8], v[9:10], s[2:3]
	v_mov_b32_e32 v9, s9
	v_add_co_u32_e32 v1, vcc, s8, v1
	v_lshl_or_b32 v3, v12, 16, v3
	v_addc_co_u32_e32 v2, vcc, v2, v9, vcc
	global_store_dword v[1:2], v3, off
	v_and_or_b32 v3, v8, s6, v7
	v_cmp_ne_u32_e32 vcc, 0, v3
	v_cndmask_b32_e64 v3, 0, 1, vcc
	v_lshrrev_b32_e32 v7, 8, v8
	v_bfe_u32 v9, v8, 20, 11
	v_and_or_b32 v3, v7, s7, v3
	v_sub_u32_e32 v10, 0x3f1, v9
	v_or_b32_e32 v7, 0x1000, v3
	v_med3_i32 v10, v10, 0, 13
	v_lshrrev_b32_e32 v12, v10, v7
	v_lshlrev_b32_e32 v10, v10, v12
	v_cmp_ne_u32_e32 vcc, v10, v7
	v_mul_f16_sdwa v5, v125, v5 dst_sel:DWORD dst_unused:UNUSED_PAD src0_sel:WORD_1 src1_sel:DWORD
	v_cndmask_b32_e64 v7, 0, 1, vcc
	v_fma_f16 v5, v125, v11, -v5
	v_or_b32_e32 v7, v12, v7
	v_add_u32_e32 v12, 0xfffffc10, v9
	v_cvt_f32_f16_e32 v5, v5
	v_lshl_or_b32 v9, v12, 12, v3
	v_cmp_gt_i32_e32 vcc, 1, v12
	v_cndmask_b32_e32 v7, v9, v7, vcc
	v_and_b32_e32 v9, 7, v7
	v_cmp_lt_i32_e32 vcc, 5, v9
	v_cmp_eq_u32_e64 s[0:1], 3, v9
	v_cvt_f64_f32_e32 v[9:10], v5
	v_lshrrev_b32_e32 v7, 2, v7
	s_or_b64 vcc, s[0:1], vcc
	v_addc_co_u32_e32 v5, vcc, 0, v7, vcc
	v_mul_f64 v[9:10], v[9:10], s[2:3]
	v_cmp_gt_i32_e32 vcc, 31, v12
	v_cndmask_b32_e32 v5, v0, v5, vcc
	v_cmp_ne_u32_e32 vcc, 0, v3
	v_cndmask_b32_e64 v3, 0, 1, vcc
	v_lshl_or_b32 v3, v3, 9, v0
	v_cmp_eq_u32_e32 vcc, s10, v12
	v_cndmask_b32_e32 v3, v5, v3, vcc
	v_lshrrev_b32_e32 v5, 16, v8
	v_and_or_b32 v3, v5, s11, v3
	v_and_or_b32 v5, v10, s6, v9
	v_cmp_ne_u32_e32 vcc, 0, v5
	v_cndmask_b32_e64 v5, 0, 1, vcc
	v_lshrrev_b32_e32 v7, 8, v10
	v_bfe_u32 v8, v10, 20, 11
	v_and_or_b32 v5, v7, s7, v5
	v_sub_u32_e32 v9, 0x3f1, v8
	v_or_b32_e32 v7, 0x1000, v5
	v_med3_i32 v9, v9, 0, 13
	v_lshrrev_b32_e32 v11, v9, v7
	v_lshlrev_b32_e32 v9, v9, v11
	v_cmp_ne_u32_e32 vcc, v9, v7
	v_cndmask_b32_e64 v7, 0, 1, vcc
	v_add_u32_e32 v9, 0xfffffc10, v8
	v_or_b32_e32 v7, v11, v7
	v_lshl_or_b32 v8, v9, 12, v5
	v_cmp_gt_i32_e32 vcc, 1, v9
	v_cndmask_b32_e32 v7, v8, v7, vcc
	v_and_b32_e32 v8, 7, v7
	v_cmp_lt_i32_e32 vcc, 5, v8
	v_cmp_eq_u32_e64 s[0:1], 3, v8
	v_lshrrev_b32_e32 v7, 2, v7
	s_or_b64 vcc, s[0:1], vcc
	v_addc_co_u32_e32 v11, vcc, 0, v7, vcc
	ds_read2_b32 v[7:8], v131 offset0:60 offset1:150
	v_cmp_gt_i32_e32 vcc, 31, v9
	v_cndmask_b32_e32 v11, v0, v11, vcc
	v_cmp_ne_u32_e32 vcc, 0, v5
	v_cndmask_b32_e64 v5, 0, 1, vcc
	s_waitcnt lgkmcnt(0)
	v_lshrrev_b32_e32 v13, 16, v7
	v_mul_f16_sdwa v12, v122, v13 dst_sel:DWORD dst_unused:UNUSED_PAD src0_sel:WORD_1 src1_sel:DWORD
	v_fma_f16 v12, v122, v7, v12
	v_cvt_f32_f16_e32 v12, v12
	v_lshl_or_b32 v5, v5, 9, v0
	v_cmp_eq_u32_e32 vcc, s10, v9
	v_cndmask_b32_e32 v5, v11, v5, vcc
	v_cvt_f64_f32_e32 v[11:12], v12
	v_lshrrev_b32_e32 v9, 16, v10
	v_and_or_b32 v5, v9, s11, v5
	v_and_b32_e32 v3, 0xffff, v3
	v_mul_f64 v[9:10], v[11:12], s[2:3]
	v_lshl_or_b32 v3, v5, 16, v3
	v_mov_b32_e32 v5, s4
	v_add_co_u32_e32 v1, vcc, s5, v1
	v_addc_co_u32_e32 v2, vcc, v2, v5, vcc
	global_store_dword v[1:2], v3, off
	v_and_or_b32 v3, v10, s6, v9
	v_cmp_ne_u32_e32 vcc, 0, v3
	v_cndmask_b32_e64 v3, 0, 1, vcc
	v_lshrrev_b32_e32 v5, 8, v10
	v_bfe_u32 v9, v10, 20, 11
	v_and_or_b32 v3, v5, s7, v3
	v_sub_u32_e32 v11, 0x3f1, v9
	v_or_b32_e32 v5, 0x1000, v3
	v_med3_i32 v11, v11, 0, 13
	v_lshrrev_b32_e32 v12, v11, v5
	v_lshlrev_b32_e32 v11, v11, v12
	v_mul_f16_sdwa v7, v122, v7 dst_sel:DWORD dst_unused:UNUSED_PAD src0_sel:WORD_1 src1_sel:DWORD
	v_cmp_ne_u32_e32 vcc, v11, v5
	v_fma_f16 v7, v122, v13, -v7
	v_cndmask_b32_e64 v5, 0, 1, vcc
	v_add_u32_e32 v9, 0xfffffc10, v9
	v_cvt_f32_f16_e32 v7, v7
	v_or_b32_e32 v5, v12, v5
	v_lshl_or_b32 v11, v9, 12, v3
	v_cmp_gt_i32_e32 vcc, 1, v9
	v_cndmask_b32_e32 v5, v11, v5, vcc
	v_and_b32_e32 v11, 7, v5
	v_cmp_lt_i32_e32 vcc, 5, v11
	v_cmp_eq_u32_e64 s[0:1], 3, v11
	v_cvt_f64_f32_e32 v[11:12], v7
	v_lshrrev_b32_e32 v5, 2, v5
	s_or_b64 vcc, s[0:1], vcc
	v_addc_co_u32_e32 v5, vcc, 0, v5, vcc
	v_mul_f64 v[11:12], v[11:12], s[2:3]
	v_cmp_gt_i32_e32 vcc, 31, v9
	v_cndmask_b32_e32 v5, v0, v5, vcc
	v_cmp_ne_u32_e32 vcc, 0, v3
	v_cndmask_b32_e64 v3, 0, 1, vcc
	v_lshl_or_b32 v3, v3, 9, v0
	v_cmp_eq_u32_e32 vcc, s10, v9
	v_cndmask_b32_e32 v3, v5, v3, vcc
	v_lshrrev_b32_e32 v5, 16, v10
	v_and_or_b32 v3, v5, s11, v3
	v_and_or_b32 v5, v12, s6, v11
	v_cmp_ne_u32_e32 vcc, 0, v5
	v_cndmask_b32_e64 v5, 0, 1, vcc
	v_lshrrev_b32_e32 v7, 8, v12
	v_bfe_u32 v9, v12, 20, 11
	v_and_or_b32 v5, v7, s7, v5
	v_sub_u32_e32 v10, 0x3f1, v9
	v_or_b32_e32 v7, 0x1000, v5
	v_med3_i32 v10, v10, 0, 13
	v_lshrrev_b32_e32 v11, v10, v7
	v_lshlrev_b32_e32 v10, v10, v11
	v_cmp_ne_u32_e32 vcc, v10, v7
	v_cndmask_b32_e64 v7, 0, 1, vcc
	v_add_u32_e32 v9, 0xfffffc10, v9
	v_or_b32_e32 v7, v11, v7
	v_lshl_or_b32 v10, v9, 12, v5
	v_cmp_gt_i32_e32 vcc, 1, v9
	v_cndmask_b32_e32 v7, v10, v7, vcc
	v_and_b32_e32 v10, 7, v7
	v_lshrrev_b32_e32 v11, 16, v4
	v_cmp_lt_i32_e32 vcc, 5, v10
	v_cmp_eq_u32_e64 s[0:1], 3, v10
	v_mul_f16_sdwa v10, v116, v11 dst_sel:DWORD dst_unused:UNUSED_PAD src0_sel:WORD_1 src1_sel:DWORD
	v_fma_f16 v10, v116, v4, v10
	v_lshrrev_b32_e32 v7, 2, v7
	s_or_b64 vcc, s[0:1], vcc
	v_cvt_f32_f16_e32 v10, v10
	v_addc_co_u32_e32 v7, vcc, 0, v7, vcc
	v_cmp_gt_i32_e32 vcc, 31, v9
	v_cndmask_b32_e32 v7, v0, v7, vcc
	v_cmp_ne_u32_e32 vcc, 0, v5
	v_cndmask_b32_e64 v5, 0, 1, vcc
	v_cmp_eq_u32_e32 vcc, s10, v9
	v_cvt_f64_f32_e32 v[9:10], v10
	v_lshl_or_b32 v5, v5, 9, v0
	v_cndmask_b32_e32 v5, v7, v5, vcc
	v_lshrrev_b32_e32 v7, 16, v12
	v_mul_f64 v[9:10], v[9:10], s[2:3]
	v_and_or_b32 v5, v7, s11, v5
	v_and_b32_e32 v3, 0xffff, v3
	v_lshl_or_b32 v3, v5, 16, v3
	v_mov_b32_e32 v5, s4
	v_add_co_u32_e32 v1, vcc, s5, v1
	v_addc_co_u32_e32 v2, vcc, v2, v5, vcc
	global_store_dword v[1:2], v3, off
	v_and_or_b32 v3, v10, s6, v9
	v_cmp_ne_u32_e32 vcc, 0, v3
	v_cndmask_b32_e64 v3, 0, 1, vcc
	v_lshrrev_b32_e32 v5, 8, v10
	v_bfe_u32 v7, v10, 20, 11
	v_and_or_b32 v5, v5, s7, v3
	v_sub_u32_e32 v9, 0x3f1, v7
	v_or_b32_e32 v3, 0x1000, v5
	v_med3_i32 v9, v9, 0, 13
	v_lshrrev_b32_e32 v12, v9, v3
	v_lshlrev_b32_e32 v9, v9, v12
	v_mul_f16_sdwa v4, v116, v4 dst_sel:DWORD dst_unused:UNUSED_PAD src0_sel:WORD_1 src1_sel:DWORD
	v_cmp_ne_u32_e32 vcc, v9, v3
	v_fma_f16 v4, v116, v11, -v4
	v_cndmask_b32_e64 v3, 0, 1, vcc
	v_add_u32_e32 v7, 0xfffffc10, v7
	v_cvt_f32_f16_e32 v4, v4
	v_or_b32_e32 v3, v12, v3
	v_lshl_or_b32 v9, v7, 12, v5
	v_cmp_gt_i32_e32 vcc, 1, v7
	v_cndmask_b32_e32 v3, v9, v3, vcc
	v_and_b32_e32 v9, 7, v3
	v_cmp_lt_i32_e32 vcc, 5, v9
	v_cmp_eq_u32_e64 s[0:1], 3, v9
	v_lshrrev_b32_e32 v9, 2, v3
	v_cvt_f64_f32_e32 v[3:4], v4
	s_or_b64 vcc, s[0:1], vcc
	v_addc_co_u32_e32 v9, vcc, 0, v9, vcc
	v_mul_f64 v[3:4], v[3:4], s[2:3]
	v_cmp_gt_i32_e32 vcc, 31, v7
	v_cndmask_b32_e32 v9, v0, v9, vcc
	v_cmp_ne_u32_e32 vcc, 0, v5
	v_cndmask_b32_e64 v5, 0, 1, vcc
	v_lshl_or_b32 v5, v5, 9, v0
	v_cmp_eq_u32_e32 vcc, s10, v7
	v_cndmask_b32_e32 v5, v9, v5, vcc
	v_and_or_b32 v3, v4, s6, v3
	v_lshrrev_b32_e32 v7, 16, v10
	v_cmp_ne_u32_e32 vcc, 0, v3
	v_and_or_b32 v5, v7, s11, v5
	v_cndmask_b32_e64 v3, 0, 1, vcc
	v_lshrrev_b32_e32 v7, 8, v4
	v_bfe_u32 v9, v4, 20, 11
	v_and_or_b32 v3, v7, s7, v3
	v_sub_u32_e32 v10, 0x3f1, v9
	v_or_b32_e32 v7, 0x1000, v3
	v_med3_i32 v10, v10, 0, 13
	v_lshrrev_b32_e32 v11, v10, v7
	v_lshlrev_b32_e32 v10, v10, v11
	v_cmp_ne_u32_e32 vcc, v10, v7
	v_cndmask_b32_e64 v7, 0, 1, vcc
	v_add_u32_e32 v9, 0xfffffc10, v9
	v_or_b32_e32 v7, v11, v7
	v_lshl_or_b32 v10, v9, 12, v3
	v_cmp_gt_i32_e32 vcc, 1, v9
	v_cndmask_b32_e32 v7, v10, v7, vcc
	v_and_b32_e32 v10, 7, v7
	v_lshrrev_b32_e32 v11, 16, v6
	v_cmp_lt_i32_e32 vcc, 5, v10
	v_cmp_eq_u32_e64 s[0:1], 3, v10
	v_mul_f16_sdwa v10, v119, v11 dst_sel:DWORD dst_unused:UNUSED_PAD src0_sel:WORD_1 src1_sel:DWORD
	v_fma_f16 v10, v119, v6, v10
	v_lshrrev_b32_e32 v7, 2, v7
	s_or_b64 vcc, s[0:1], vcc
	v_cvt_f32_f16_e32 v10, v10
	v_addc_co_u32_e32 v7, vcc, 0, v7, vcc
	v_cmp_gt_i32_e32 vcc, 31, v9
	v_cndmask_b32_e32 v7, v0, v7, vcc
	v_cmp_ne_u32_e32 vcc, 0, v3
	v_cndmask_b32_e64 v3, 0, 1, vcc
	v_cmp_eq_u32_e32 vcc, s10, v9
	v_cvt_f64_f32_e32 v[9:10], v10
	v_lshl_or_b32 v3, v3, 9, v0
	v_cndmask_b32_e32 v3, v7, v3, vcc
	v_lshrrev_b32_e32 v4, 16, v4
	v_and_or_b32 v7, v4, s11, v3
	v_mul_f64 v[3:4], v[9:10], s[2:3]
	v_and_b32_e32 v5, 0xffff, v5
	v_lshl_or_b32 v5, v7, 16, v5
	v_mov_b32_e32 v7, s9
	v_add_co_u32_e32 v1, vcc, s8, v1
	v_addc_co_u32_e32 v2, vcc, v2, v7, vcc
	v_and_or_b32 v3, v4, s6, v3
	v_cmp_ne_u32_e32 vcc, 0, v3
	global_store_dword v[1:2], v5, off
	v_cndmask_b32_e64 v3, 0, 1, vcc
	v_lshrrev_b32_e32 v5, 8, v4
	v_bfe_u32 v7, v4, 20, 11
	v_and_or_b32 v3, v5, s7, v3
	v_sub_u32_e32 v9, 0x3f1, v7
	v_or_b32_e32 v5, 0x1000, v3
	v_med3_i32 v9, v9, 0, 13
	v_lshrrev_b32_e32 v10, v9, v5
	v_lshlrev_b32_e32 v9, v9, v10
	v_mul_f16_sdwa v6, v119, v6 dst_sel:DWORD dst_unused:UNUSED_PAD src0_sel:WORD_1 src1_sel:DWORD
	v_cmp_ne_u32_e32 vcc, v9, v5
	v_fma_f16 v6, v119, v11, -v6
	v_cndmask_b32_e64 v5, 0, 1, vcc
	v_add_u32_e32 v7, 0xfffffc10, v7
	v_cvt_f32_f16_e32 v6, v6
	v_or_b32_e32 v5, v10, v5
	v_lshl_or_b32 v9, v7, 12, v3
	v_cmp_gt_i32_e32 vcc, 1, v7
	v_cndmask_b32_e32 v5, v9, v5, vcc
	v_and_b32_e32 v9, 7, v5
	v_cmp_lt_i32_e32 vcc, 5, v9
	v_cmp_eq_u32_e64 s[0:1], 3, v9
	v_lshrrev_b32_e32 v9, 2, v5
	v_cvt_f64_f32_e32 v[5:6], v6
	s_or_b64 vcc, s[0:1], vcc
	v_addc_co_u32_e32 v9, vcc, 0, v9, vcc
	v_mul_f64 v[5:6], v[5:6], s[2:3]
	v_cmp_gt_i32_e32 vcc, 31, v7
	v_cndmask_b32_e32 v9, v0, v9, vcc
	v_cmp_ne_u32_e32 vcc, 0, v3
	v_cndmask_b32_e64 v3, 0, 1, vcc
	v_lshl_or_b32 v3, v3, 9, v0
	v_cmp_eq_u32_e32 vcc, s10, v7
	v_cndmask_b32_e32 v3, v9, v3, vcc
	v_lshrrev_b32_e32 v4, 16, v4
	v_and_or_b32 v7, v4, s11, v3
	v_and_or_b32 v3, v6, s6, v5
	v_cmp_ne_u32_e32 vcc, 0, v3
	v_cndmask_b32_e64 v3, 0, 1, vcc
	v_lshrrev_b32_e32 v4, 8, v6
	v_bfe_u32 v5, v6, 20, 11
	v_and_or_b32 v3, v4, s7, v3
	v_sub_u32_e32 v9, 0x3f1, v5
	v_or_b32_e32 v4, 0x1000, v3
	v_med3_i32 v9, v9, 0, 13
	v_lshrrev_b32_e32 v10, v9, v4
	v_lshlrev_b32_e32 v9, v9, v10
	v_cmp_ne_u32_e32 vcc, v9, v4
	v_cndmask_b32_e64 v4, 0, 1, vcc
	v_add_u32_e32 v5, 0xfffffc10, v5
	v_or_b32_e32 v4, v10, v4
	v_lshl_or_b32 v9, v5, 12, v3
	v_cmp_gt_i32_e32 vcc, 1, v5
	v_cndmask_b32_e32 v4, v9, v4, vcc
	v_and_b32_e32 v9, 7, v4
	v_cmp_lt_i32_e32 vcc, 5, v9
	v_cmp_eq_u32_e64 s[0:1], 3, v9
	v_lshrrev_b32_e32 v9, 16, v8
	v_lshrrev_b32_e32 v4, 2, v4
	s_or_b64 vcc, s[0:1], vcc
	v_mul_f16_sdwa v10, v117, v9 dst_sel:DWORD dst_unused:UNUSED_PAD src0_sel:WORD_1 src1_sel:DWORD
	v_addc_co_u32_e32 v4, vcc, 0, v4, vcc
	v_fma_f16 v10, v117, v8, v10
	v_cmp_gt_i32_e32 vcc, 31, v5
	v_cvt_f32_f16_e32 v10, v10
	v_cndmask_b32_e32 v4, v0, v4, vcc
	v_cmp_ne_u32_e32 vcc, 0, v3
	v_cndmask_b32_e64 v3, 0, 1, vcc
	v_lshl_or_b32 v3, v3, 9, v0
	v_cmp_eq_u32_e32 vcc, s10, v5
	v_cndmask_b32_e32 v5, v4, v3, vcc
	v_cvt_f64_f32_e32 v[3:4], v10
	v_lshrrev_b32_e32 v6, 16, v6
	v_and_or_b32 v5, v6, s11, v5
	v_and_b32_e32 v6, 0xffff, v7
	v_mul_f64 v[3:4], v[3:4], s[2:3]
	v_lshl_or_b32 v5, v5, 16, v6
	v_mov_b32_e32 v6, s4
	v_add_co_u32_e32 v1, vcc, s5, v1
	v_addc_co_u32_e32 v2, vcc, v2, v6, vcc
	global_store_dword v[1:2], v5, off
	v_and_or_b32 v3, v4, s6, v3
	v_cmp_ne_u32_e32 vcc, 0, v3
	v_cndmask_b32_e64 v3, 0, 1, vcc
	v_lshrrev_b32_e32 v5, 8, v4
	v_bfe_u32 v6, v4, 20, 11
	v_and_or_b32 v3, v5, s7, v3
	v_sub_u32_e32 v7, 0x3f1, v6
	v_or_b32_e32 v5, 0x1000, v3
	v_med3_i32 v7, v7, 0, 13
	v_lshrrev_b32_e32 v10, v7, v5
	v_lshlrev_b32_e32 v7, v7, v10
	v_mul_f16_sdwa v8, v117, v8 dst_sel:DWORD dst_unused:UNUSED_PAD src0_sel:WORD_1 src1_sel:DWORD
	v_cmp_ne_u32_e32 vcc, v7, v5
	v_fma_f16 v8, v117, v9, -v8
	v_cndmask_b32_e64 v5, 0, 1, vcc
	v_add_u32_e32 v7, 0xfffffc10, v6
	v_cvt_f32_f16_e32 v8, v8
	v_or_b32_e32 v5, v10, v5
	v_lshl_or_b32 v6, v7, 12, v3
	v_cmp_gt_i32_e32 vcc, 1, v7
	v_cndmask_b32_e32 v5, v6, v5, vcc
	v_and_b32_e32 v6, 7, v5
	v_cmp_lt_i32_e32 vcc, 5, v6
	v_cmp_eq_u32_e64 s[0:1], 3, v6
	v_lshrrev_b32_e32 v9, 2, v5
	v_cvt_f64_f32_e32 v[5:6], v8
	s_or_b64 vcc, s[0:1], vcc
	v_addc_co_u32_e32 v8, vcc, 0, v9, vcc
	v_mul_f64 v[5:6], v[5:6], s[2:3]
	v_cmp_gt_i32_e32 vcc, 31, v7
	v_cndmask_b32_e32 v8, v0, v8, vcc
	v_cmp_ne_u32_e32 vcc, 0, v3
	v_cndmask_b32_e64 v3, 0, 1, vcc
	v_lshl_or_b32 v3, v3, 9, v0
	v_cmp_eq_u32_e32 vcc, s10, v7
	v_cndmask_b32_e32 v3, v8, v3, vcc
	v_lshrrev_b32_e32 v4, 16, v4
	v_and_or_b32 v9, v4, s11, v3
	v_and_or_b32 v3, v6, s6, v5
	v_cmp_ne_u32_e32 vcc, 0, v3
	v_cndmask_b32_e64 v3, 0, 1, vcc
	v_lshrrev_b32_e32 v4, 8, v6
	v_and_or_b32 v5, v4, s7, v3
	v_bfe_u32 v4, v6, 20, 11
	v_sub_u32_e32 v7, 0x3f1, v4
	v_or_b32_e32 v3, 0x1000, v5
	v_med3_i32 v7, v7, 0, 13
	v_lshrrev_b32_e32 v8, v7, v3
	v_lshlrev_b32_e32 v7, v7, v8
	v_cmp_ne_u32_e32 vcc, v7, v3
	v_cndmask_b32_e64 v3, 0, 1, vcc
	v_add_u32_e32 v7, 0xfffffc10, v4
	v_or_b32_e32 v3, v8, v3
	v_lshl_or_b32 v4, v7, 12, v5
	v_cmp_gt_i32_e32 vcc, 1, v7
	v_cndmask_b32_e32 v3, v4, v3, vcc
	v_and_b32_e32 v4, 7, v3
	v_cmp_lt_i32_e32 vcc, 5, v4
	v_cmp_eq_u32_e64 s[0:1], 3, v4
	v_lshrrev_b32_e32 v3, 2, v3
	s_or_b64 vcc, s[0:1], vcc
	v_addc_co_u32_e32 v8, vcc, 0, v3, vcc
	ds_read2_b32 v[3:4], v118 offset0:104 offset1:194
	v_cmp_gt_i32_e32 vcc, 31, v7
	v_cndmask_b32_e32 v8, v0, v8, vcc
	v_cmp_ne_u32_e32 vcc, 0, v5
	v_cndmask_b32_e64 v5, 0, 1, vcc
	s_waitcnt lgkmcnt(0)
	v_lshrrev_b32_e32 v10, 16, v3
	v_mul_f16_sdwa v11, v112, v10 dst_sel:DWORD dst_unused:UNUSED_PAD src0_sel:WORD_1 src1_sel:DWORD
	v_fma_f16 v11, v112, v3, v11
	v_cvt_f32_f16_e32 v11, v11
	v_lshl_or_b32 v5, v5, 9, v0
	v_cmp_eq_u32_e32 vcc, s10, v7
	v_cndmask_b32_e32 v5, v8, v5, vcc
	v_cvt_f64_f32_e32 v[7:8], v11
	v_lshrrev_b32_e32 v6, 16, v6
	v_and_or_b32 v11, v6, s11, v5
	v_add_co_u32_e32 v1, vcc, s5, v1
	v_mul_f64 v[5:6], v[7:8], s[2:3]
	v_mov_b32_e32 v8, s4
	v_and_b32_e32 v9, 0xffff, v9
	v_addc_co_u32_e32 v2, vcc, v2, v8, vcc
	v_lshl_or_b32 v7, v11, 16, v9
	global_store_dword v[1:2], v7, off
	v_mul_f16_sdwa v3, v112, v3 dst_sel:DWORD dst_unused:UNUSED_PAD src0_sel:WORD_1 src1_sel:DWORD
	v_and_or_b32 v5, v6, s6, v5
	v_cmp_ne_u32_e32 vcc, 0, v5
	v_cndmask_b32_e64 v5, 0, 1, vcc
	v_lshrrev_b32_e32 v7, 8, v6
	v_bfe_u32 v8, v6, 20, 11
	v_and_or_b32 v5, v7, s7, v5
	v_sub_u32_e32 v9, 0x3f1, v8
	v_or_b32_e32 v7, 0x1000, v5
	v_med3_i32 v9, v9, 0, 13
	v_lshrrev_b32_e32 v11, v9, v7
	v_lshlrev_b32_e32 v9, v9, v11
	v_cmp_ne_u32_e32 vcc, v9, v7
	v_fma_f16 v3, v112, v10, -v3
	v_cndmask_b32_e64 v7, 0, 1, vcc
	v_add_u32_e32 v9, 0xfffffc10, v8
	v_cvt_f32_f16_e32 v3, v3
	v_or_b32_e32 v7, v11, v7
	v_lshl_or_b32 v8, v9, 12, v5
	v_cmp_gt_i32_e32 vcc, 1, v9
	v_cndmask_b32_e32 v7, v8, v7, vcc
	v_and_b32_e32 v8, 7, v7
	v_cmp_lt_i32_e32 vcc, 5, v8
	v_cmp_eq_u32_e64 s[0:1], 3, v8
	v_lshrrev_b32_e32 v10, 2, v7
	v_cvt_f64_f32_e32 v[7:8], v3
	s_or_b64 vcc, s[0:1], vcc
	v_addc_co_u32_e32 v3, vcc, 0, v10, vcc
	v_mul_f64 v[7:8], v[7:8], s[2:3]
	v_cmp_gt_i32_e32 vcc, 31, v9
	v_cndmask_b32_e32 v3, v0, v3, vcc
	v_cmp_ne_u32_e32 vcc, 0, v5
	v_cndmask_b32_e64 v5, 0, 1, vcc
	v_lshl_or_b32 v5, v5, 9, v0
	v_cmp_eq_u32_e32 vcc, s10, v9
	v_cndmask_b32_e32 v3, v3, v5, vcc
	v_lshrrev_b32_e32 v5, 16, v6
	v_and_or_b32 v3, v5, s11, v3
	v_and_or_b32 v5, v8, s6, v7
	v_cmp_ne_u32_e32 vcc, 0, v5
	v_cndmask_b32_e64 v5, 0, 1, vcc
	v_lshrrev_b32_e32 v6, 8, v8
	v_and_or_b32 v7, v6, s7, v5
	v_bfe_u32 v6, v8, 20, 11
	v_sub_u32_e32 v9, 0x3f1, v6
	v_or_b32_e32 v5, 0x1000, v7
	v_med3_i32 v9, v9, 0, 13
	v_lshrrev_b32_e32 v10, v9, v5
	v_lshlrev_b32_e32 v9, v9, v10
	v_cmp_ne_u32_e32 vcc, v9, v5
	v_cndmask_b32_e64 v5, 0, 1, vcc
	v_add_u32_e32 v9, 0xfffffc10, v6
	v_or_b32_e32 v5, v10, v5
	v_lshl_or_b32 v6, v9, 12, v7
	v_cmp_gt_i32_e32 vcc, 1, v9
	v_cndmask_b32_e32 v5, v6, v5, vcc
	v_and_b32_e32 v6, 7, v5
	v_cmp_lt_i32_e32 vcc, 5, v6
	v_cmp_eq_u32_e64 s[0:1], 3, v6
	v_lshrrev_b32_e32 v5, 2, v5
	s_or_b64 vcc, s[0:1], vcc
	v_addc_co_u32_e32 v10, vcc, 0, v5, vcc
	ds_read2_b32 v[5:6], v121 offset0:108 offset1:198
	v_cmp_gt_i32_e32 vcc, 31, v9
	v_cndmask_b32_e32 v10, v0, v10, vcc
	v_cmp_ne_u32_e32 vcc, 0, v7
	v_cndmask_b32_e64 v7, 0, 1, vcc
	s_waitcnt lgkmcnt(0)
	v_lshrrev_b32_e32 v11, 16, v5
	v_mul_f16_sdwa v12, v114, v11 dst_sel:DWORD dst_unused:UNUSED_PAD src0_sel:WORD_1 src1_sel:DWORD
	v_fma_f16 v12, v114, v5, v12
	v_cvt_f32_f16_e32 v12, v12
	v_lshl_or_b32 v7, v7, 9, v0
	v_cmp_eq_u32_e32 vcc, s10, v9
	v_cndmask_b32_e32 v7, v10, v7, vcc
	v_cvt_f64_f32_e32 v[9:10], v12
	v_lshrrev_b32_e32 v8, 16, v8
	v_and_or_b32 v12, v8, s11, v7
	v_and_b32_e32 v3, 0xffff, v3
	v_mul_f64 v[7:8], v[9:10], s[2:3]
	v_mov_b32_e32 v9, s9
	v_add_co_u32_e32 v1, vcc, s8, v1
	v_lshl_or_b32 v3, v12, 16, v3
	v_addc_co_u32_e32 v2, vcc, v2, v9, vcc
	global_store_dword v[1:2], v3, off
	v_and_or_b32 v3, v8, s6, v7
	v_cmp_ne_u32_e32 vcc, 0, v3
	v_cndmask_b32_e64 v3, 0, 1, vcc
	v_lshrrev_b32_e32 v7, 8, v8
	v_bfe_u32 v9, v8, 20, 11
	v_and_or_b32 v3, v7, s7, v3
	v_sub_u32_e32 v10, 0x3f1, v9
	v_or_b32_e32 v7, 0x1000, v3
	v_med3_i32 v10, v10, 0, 13
	v_lshrrev_b32_e32 v12, v10, v7
	v_lshlrev_b32_e32 v10, v10, v12
	v_cmp_ne_u32_e32 vcc, v10, v7
	v_mul_f16_sdwa v5, v114, v5 dst_sel:DWORD dst_unused:UNUSED_PAD src0_sel:WORD_1 src1_sel:DWORD
	v_cndmask_b32_e64 v7, 0, 1, vcc
	v_fma_f16 v5, v114, v11, -v5
	v_or_b32_e32 v7, v12, v7
	v_add_u32_e32 v12, 0xfffffc10, v9
	v_cvt_f32_f16_e32 v5, v5
	v_lshl_or_b32 v9, v12, 12, v3
	v_cmp_gt_i32_e32 vcc, 1, v12
	v_cndmask_b32_e32 v7, v9, v7, vcc
	v_and_b32_e32 v9, 7, v7
	v_cmp_lt_i32_e32 vcc, 5, v9
	v_cmp_eq_u32_e64 s[0:1], 3, v9
	v_cvt_f64_f32_e32 v[9:10], v5
	v_lshrrev_b32_e32 v7, 2, v7
	s_or_b64 vcc, s[0:1], vcc
	v_addc_co_u32_e32 v5, vcc, 0, v7, vcc
	v_mul_f64 v[9:10], v[9:10], s[2:3]
	v_cmp_gt_i32_e32 vcc, 31, v12
	v_cndmask_b32_e32 v5, v0, v5, vcc
	v_cmp_ne_u32_e32 vcc, 0, v3
	v_cndmask_b32_e64 v3, 0, 1, vcc
	v_lshl_or_b32 v3, v3, 9, v0
	v_cmp_eq_u32_e32 vcc, s10, v12
	v_cndmask_b32_e32 v3, v5, v3, vcc
	v_lshrrev_b32_e32 v5, 16, v8
	v_and_or_b32 v3, v5, s11, v3
	v_and_or_b32 v5, v10, s6, v9
	v_cmp_ne_u32_e32 vcc, 0, v5
	v_cndmask_b32_e64 v5, 0, 1, vcc
	v_lshrrev_b32_e32 v7, 8, v10
	v_bfe_u32 v8, v10, 20, 11
	v_and_or_b32 v5, v7, s7, v5
	v_sub_u32_e32 v9, 0x3f1, v8
	v_or_b32_e32 v7, 0x1000, v5
	v_med3_i32 v9, v9, 0, 13
	v_lshrrev_b32_e32 v11, v9, v7
	v_lshlrev_b32_e32 v9, v9, v11
	v_cmp_ne_u32_e32 vcc, v9, v7
	v_cndmask_b32_e64 v7, 0, 1, vcc
	v_add_u32_e32 v9, 0xfffffc10, v8
	v_or_b32_e32 v7, v11, v7
	v_lshl_or_b32 v8, v9, 12, v5
	v_cmp_gt_i32_e32 vcc, 1, v9
	v_cndmask_b32_e32 v7, v8, v7, vcc
	v_and_b32_e32 v8, 7, v7
	v_cmp_lt_i32_e32 vcc, 5, v8
	v_cmp_eq_u32_e64 s[0:1], 3, v8
	v_lshrrev_b32_e32 v7, 2, v7
	s_or_b64 vcc, s[0:1], vcc
	v_addc_co_u32_e32 v11, vcc, 0, v7, vcc
	ds_read2_b32 v[7:8], v115 offset0:112 offset1:202
	v_cmp_gt_i32_e32 vcc, 31, v9
	v_cndmask_b32_e32 v11, v0, v11, vcc
	v_cmp_ne_u32_e32 vcc, 0, v5
	v_cndmask_b32_e64 v5, 0, 1, vcc
	s_waitcnt lgkmcnt(0)
	v_lshrrev_b32_e32 v13, 16, v7
	v_mul_f16_sdwa v12, v113, v13 dst_sel:DWORD dst_unused:UNUSED_PAD src0_sel:WORD_1 src1_sel:DWORD
	v_fma_f16 v12, v113, v7, v12
	v_cvt_f32_f16_e32 v12, v12
	v_lshl_or_b32 v5, v5, 9, v0
	v_cmp_eq_u32_e32 vcc, s10, v9
	v_cndmask_b32_e32 v5, v11, v5, vcc
	v_cvt_f64_f32_e32 v[11:12], v12
	v_lshrrev_b32_e32 v9, 16, v10
	v_and_or_b32 v5, v9, s11, v5
	v_and_b32_e32 v3, 0xffff, v3
	v_mul_f64 v[9:10], v[11:12], s[2:3]
	v_lshl_or_b32 v3, v5, 16, v3
	v_mov_b32_e32 v5, s4
	v_add_co_u32_e32 v1, vcc, s5, v1
	v_addc_co_u32_e32 v2, vcc, v2, v5, vcc
	global_store_dword v[1:2], v3, off
	v_and_or_b32 v3, v10, s6, v9
	v_cmp_ne_u32_e32 vcc, 0, v3
	v_cndmask_b32_e64 v3, 0, 1, vcc
	v_lshrrev_b32_e32 v5, 8, v10
	v_bfe_u32 v9, v10, 20, 11
	v_and_or_b32 v3, v5, s7, v3
	v_sub_u32_e32 v11, 0x3f1, v9
	v_or_b32_e32 v5, 0x1000, v3
	v_med3_i32 v11, v11, 0, 13
	v_lshrrev_b32_e32 v12, v11, v5
	v_lshlrev_b32_e32 v11, v11, v12
	v_mul_f16_sdwa v7, v113, v7 dst_sel:DWORD dst_unused:UNUSED_PAD src0_sel:WORD_1 src1_sel:DWORD
	v_cmp_ne_u32_e32 vcc, v11, v5
	v_fma_f16 v7, v113, v13, -v7
	v_cndmask_b32_e64 v5, 0, 1, vcc
	v_add_u32_e32 v9, 0xfffffc10, v9
	v_cvt_f32_f16_e32 v7, v7
	v_or_b32_e32 v5, v12, v5
	v_lshl_or_b32 v11, v9, 12, v3
	v_cmp_gt_i32_e32 vcc, 1, v9
	v_cndmask_b32_e32 v5, v11, v5, vcc
	v_and_b32_e32 v11, 7, v5
	v_cmp_lt_i32_e32 vcc, 5, v11
	v_cmp_eq_u32_e64 s[0:1], 3, v11
	v_cvt_f64_f32_e32 v[11:12], v7
	v_lshrrev_b32_e32 v5, 2, v5
	s_or_b64 vcc, s[0:1], vcc
	v_addc_co_u32_e32 v5, vcc, 0, v5, vcc
	v_mul_f64 v[11:12], v[11:12], s[2:3]
	v_cmp_gt_i32_e32 vcc, 31, v9
	v_cndmask_b32_e32 v5, v0, v5, vcc
	v_cmp_ne_u32_e32 vcc, 0, v3
	v_cndmask_b32_e64 v3, 0, 1, vcc
	v_lshl_or_b32 v3, v3, 9, v0
	v_cmp_eq_u32_e32 vcc, s10, v9
	v_cndmask_b32_e32 v3, v5, v3, vcc
	v_lshrrev_b32_e32 v5, 16, v10
	v_and_or_b32 v3, v5, s11, v3
	v_and_or_b32 v5, v12, s6, v11
	v_cmp_ne_u32_e32 vcc, 0, v5
	v_cndmask_b32_e64 v5, 0, 1, vcc
	v_lshrrev_b32_e32 v7, 8, v12
	v_bfe_u32 v9, v12, 20, 11
	v_and_or_b32 v5, v7, s7, v5
	v_sub_u32_e32 v10, 0x3f1, v9
	v_or_b32_e32 v7, 0x1000, v5
	v_med3_i32 v10, v10, 0, 13
	v_lshrrev_b32_e32 v11, v10, v7
	v_lshlrev_b32_e32 v10, v10, v11
	v_cmp_ne_u32_e32 vcc, v10, v7
	v_cndmask_b32_e64 v7, 0, 1, vcc
	v_add_u32_e32 v9, 0xfffffc10, v9
	v_or_b32_e32 v7, v11, v7
	v_lshl_or_b32 v10, v9, 12, v5
	v_cmp_gt_i32_e32 vcc, 1, v9
	v_cndmask_b32_e32 v7, v10, v7, vcc
	v_and_b32_e32 v10, 7, v7
	v_lshrrev_b32_e32 v11, 16, v4
	v_cmp_lt_i32_e32 vcc, 5, v10
	v_cmp_eq_u32_e64 s[0:1], 3, v10
	v_mul_f16_sdwa v10, v107, v11 dst_sel:DWORD dst_unused:UNUSED_PAD src0_sel:WORD_1 src1_sel:DWORD
	v_fma_f16 v10, v107, v4, v10
	v_lshrrev_b32_e32 v7, 2, v7
	s_or_b64 vcc, s[0:1], vcc
	v_cvt_f32_f16_e32 v10, v10
	v_addc_co_u32_e32 v7, vcc, 0, v7, vcc
	v_cmp_gt_i32_e32 vcc, 31, v9
	v_cndmask_b32_e32 v7, v0, v7, vcc
	v_cmp_ne_u32_e32 vcc, 0, v5
	v_cndmask_b32_e64 v5, 0, 1, vcc
	v_cmp_eq_u32_e32 vcc, s10, v9
	v_cvt_f64_f32_e32 v[9:10], v10
	v_lshl_or_b32 v5, v5, 9, v0
	v_cndmask_b32_e32 v5, v7, v5, vcc
	v_lshrrev_b32_e32 v7, 16, v12
	v_mul_f64 v[9:10], v[9:10], s[2:3]
	v_and_or_b32 v5, v7, s11, v5
	v_and_b32_e32 v3, 0xffff, v3
	v_lshl_or_b32 v3, v5, 16, v3
	v_mov_b32_e32 v5, s4
	v_add_co_u32_e32 v1, vcc, s5, v1
	v_addc_co_u32_e32 v2, vcc, v2, v5, vcc
	global_store_dword v[1:2], v3, off
	v_and_or_b32 v3, v10, s6, v9
	v_cmp_ne_u32_e32 vcc, 0, v3
	v_cndmask_b32_e64 v3, 0, 1, vcc
	v_lshrrev_b32_e32 v5, 8, v10
	v_bfe_u32 v7, v10, 20, 11
	v_and_or_b32 v5, v5, s7, v3
	v_sub_u32_e32 v9, 0x3f1, v7
	v_or_b32_e32 v3, 0x1000, v5
	v_med3_i32 v9, v9, 0, 13
	v_lshrrev_b32_e32 v12, v9, v3
	v_lshlrev_b32_e32 v9, v9, v12
	v_mul_f16_sdwa v4, v107, v4 dst_sel:DWORD dst_unused:UNUSED_PAD src0_sel:WORD_1 src1_sel:DWORD
	v_cmp_ne_u32_e32 vcc, v9, v3
	v_fma_f16 v4, v107, v11, -v4
	v_cndmask_b32_e64 v3, 0, 1, vcc
	v_add_u32_e32 v7, 0xfffffc10, v7
	v_cvt_f32_f16_e32 v4, v4
	v_or_b32_e32 v3, v12, v3
	v_lshl_or_b32 v9, v7, 12, v5
	v_cmp_gt_i32_e32 vcc, 1, v7
	v_cndmask_b32_e32 v3, v9, v3, vcc
	v_and_b32_e32 v9, 7, v3
	v_cmp_lt_i32_e32 vcc, 5, v9
	v_cmp_eq_u32_e64 s[0:1], 3, v9
	v_lshrrev_b32_e32 v9, 2, v3
	v_cvt_f64_f32_e32 v[3:4], v4
	s_or_b64 vcc, s[0:1], vcc
	v_addc_co_u32_e32 v9, vcc, 0, v9, vcc
	v_mul_f64 v[3:4], v[3:4], s[2:3]
	v_cmp_gt_i32_e32 vcc, 31, v7
	v_cndmask_b32_e32 v9, v0, v9, vcc
	v_cmp_ne_u32_e32 vcc, 0, v5
	v_cndmask_b32_e64 v5, 0, 1, vcc
	v_lshl_or_b32 v5, v5, 9, v0
	v_cmp_eq_u32_e32 vcc, s10, v7
	v_cndmask_b32_e32 v5, v9, v5, vcc
	v_and_or_b32 v3, v4, s6, v3
	v_lshrrev_b32_e32 v7, 16, v10
	v_cmp_ne_u32_e32 vcc, 0, v3
	v_and_or_b32 v5, v7, s11, v5
	v_cndmask_b32_e64 v3, 0, 1, vcc
	v_lshrrev_b32_e32 v7, 8, v4
	v_bfe_u32 v9, v4, 20, 11
	v_and_or_b32 v3, v7, s7, v3
	v_sub_u32_e32 v10, 0x3f1, v9
	v_or_b32_e32 v7, 0x1000, v3
	v_med3_i32 v10, v10, 0, 13
	v_lshrrev_b32_e32 v11, v10, v7
	v_lshlrev_b32_e32 v10, v10, v11
	v_cmp_ne_u32_e32 vcc, v10, v7
	v_cndmask_b32_e64 v7, 0, 1, vcc
	v_add_u32_e32 v9, 0xfffffc10, v9
	v_or_b32_e32 v7, v11, v7
	v_lshl_or_b32 v10, v9, 12, v3
	v_cmp_gt_i32_e32 vcc, 1, v9
	v_cndmask_b32_e32 v7, v10, v7, vcc
	v_and_b32_e32 v10, 7, v7
	v_lshrrev_b32_e32 v11, 16, v6
	v_cmp_lt_i32_e32 vcc, 5, v10
	v_cmp_eq_u32_e64 s[0:1], 3, v10
	v_mul_f16_sdwa v10, v110, v11 dst_sel:DWORD dst_unused:UNUSED_PAD src0_sel:WORD_1 src1_sel:DWORD
	v_fma_f16 v10, v110, v6, v10
	v_lshrrev_b32_e32 v7, 2, v7
	s_or_b64 vcc, s[0:1], vcc
	v_cvt_f32_f16_e32 v10, v10
	v_addc_co_u32_e32 v7, vcc, 0, v7, vcc
	v_cmp_gt_i32_e32 vcc, 31, v9
	v_cndmask_b32_e32 v7, v0, v7, vcc
	v_cmp_ne_u32_e32 vcc, 0, v3
	v_cndmask_b32_e64 v3, 0, 1, vcc
	v_cmp_eq_u32_e32 vcc, s10, v9
	v_cvt_f64_f32_e32 v[9:10], v10
	v_lshl_or_b32 v3, v3, 9, v0
	v_cndmask_b32_e32 v3, v7, v3, vcc
	v_lshrrev_b32_e32 v4, 16, v4
	v_and_or_b32 v7, v4, s11, v3
	v_mul_f64 v[3:4], v[9:10], s[2:3]
	v_and_b32_e32 v5, 0xffff, v5
	v_lshl_or_b32 v5, v7, 16, v5
	v_mov_b32_e32 v7, s9
	v_add_co_u32_e32 v1, vcc, s8, v1
	v_addc_co_u32_e32 v2, vcc, v2, v7, vcc
	v_and_or_b32 v3, v4, s6, v3
	v_cmp_ne_u32_e32 vcc, 0, v3
	global_store_dword v[1:2], v5, off
	v_cndmask_b32_e64 v3, 0, 1, vcc
	v_lshrrev_b32_e32 v5, 8, v4
	v_bfe_u32 v7, v4, 20, 11
	v_and_or_b32 v3, v5, s7, v3
	v_sub_u32_e32 v9, 0x3f1, v7
	v_or_b32_e32 v5, 0x1000, v3
	v_med3_i32 v9, v9, 0, 13
	v_lshrrev_b32_e32 v10, v9, v5
	v_lshlrev_b32_e32 v9, v9, v10
	v_mul_f16_sdwa v6, v110, v6 dst_sel:DWORD dst_unused:UNUSED_PAD src0_sel:WORD_1 src1_sel:DWORD
	v_cmp_ne_u32_e32 vcc, v9, v5
	v_fma_f16 v6, v110, v11, -v6
	v_cndmask_b32_e64 v5, 0, 1, vcc
	v_add_u32_e32 v7, 0xfffffc10, v7
	v_cvt_f32_f16_e32 v6, v6
	v_or_b32_e32 v5, v10, v5
	v_lshl_or_b32 v9, v7, 12, v3
	v_cmp_gt_i32_e32 vcc, 1, v7
	v_cndmask_b32_e32 v5, v9, v5, vcc
	v_and_b32_e32 v9, 7, v5
	v_cmp_lt_i32_e32 vcc, 5, v9
	v_cmp_eq_u32_e64 s[0:1], 3, v9
	v_lshrrev_b32_e32 v9, 2, v5
	v_cvt_f64_f32_e32 v[5:6], v6
	s_or_b64 vcc, s[0:1], vcc
	v_addc_co_u32_e32 v9, vcc, 0, v9, vcc
	v_mul_f64 v[5:6], v[5:6], s[2:3]
	v_cmp_gt_i32_e32 vcc, 31, v7
	v_cndmask_b32_e32 v9, v0, v9, vcc
	v_cmp_ne_u32_e32 vcc, 0, v3
	v_cndmask_b32_e64 v3, 0, 1, vcc
	v_lshl_or_b32 v3, v3, 9, v0
	v_cmp_eq_u32_e32 vcc, s10, v7
	v_cndmask_b32_e32 v3, v9, v3, vcc
	v_lshrrev_b32_e32 v4, 16, v4
	v_and_or_b32 v7, v4, s11, v3
	v_and_or_b32 v3, v6, s6, v5
	v_cmp_ne_u32_e32 vcc, 0, v3
	v_cndmask_b32_e64 v3, 0, 1, vcc
	v_lshrrev_b32_e32 v4, 8, v6
	v_bfe_u32 v5, v6, 20, 11
	v_and_or_b32 v3, v4, s7, v3
	v_sub_u32_e32 v9, 0x3f1, v5
	v_or_b32_e32 v4, 0x1000, v3
	v_med3_i32 v9, v9, 0, 13
	v_lshrrev_b32_e32 v10, v9, v4
	v_lshlrev_b32_e32 v9, v9, v10
	v_cmp_ne_u32_e32 vcc, v9, v4
	v_cndmask_b32_e64 v4, 0, 1, vcc
	v_add_u32_e32 v5, 0xfffffc10, v5
	v_or_b32_e32 v4, v10, v4
	v_lshl_or_b32 v9, v5, 12, v3
	v_cmp_gt_i32_e32 vcc, 1, v5
	v_cndmask_b32_e32 v4, v9, v4, vcc
	v_and_b32_e32 v9, 7, v4
	v_cmp_lt_i32_e32 vcc, 5, v9
	v_cmp_eq_u32_e64 s[0:1], 3, v9
	v_lshrrev_b32_e32 v9, 16, v8
	v_lshrrev_b32_e32 v4, 2, v4
	s_or_b64 vcc, s[0:1], vcc
	v_mul_f16_sdwa v10, v109, v9 dst_sel:DWORD dst_unused:UNUSED_PAD src0_sel:WORD_1 src1_sel:DWORD
	v_addc_co_u32_e32 v4, vcc, 0, v4, vcc
	v_fma_f16 v10, v109, v8, v10
	v_cmp_gt_i32_e32 vcc, 31, v5
	v_cvt_f32_f16_e32 v10, v10
	v_cndmask_b32_e32 v4, v0, v4, vcc
	v_cmp_ne_u32_e32 vcc, 0, v3
	v_cndmask_b32_e64 v3, 0, 1, vcc
	v_lshl_or_b32 v3, v3, 9, v0
	v_cmp_eq_u32_e32 vcc, s10, v5
	v_cndmask_b32_e32 v5, v4, v3, vcc
	v_cvt_f64_f32_e32 v[3:4], v10
	v_lshrrev_b32_e32 v6, 16, v6
	v_and_or_b32 v5, v6, s11, v5
	v_and_b32_e32 v6, 0xffff, v7
	v_mul_f64 v[3:4], v[3:4], s[2:3]
	v_lshl_or_b32 v5, v5, 16, v6
	v_mov_b32_e32 v6, s4
	v_add_co_u32_e32 v1, vcc, s5, v1
	v_addc_co_u32_e32 v2, vcc, v2, v6, vcc
	global_store_dword v[1:2], v5, off
	v_and_or_b32 v3, v4, s6, v3
	v_cmp_ne_u32_e32 vcc, 0, v3
	v_cndmask_b32_e64 v3, 0, 1, vcc
	v_lshrrev_b32_e32 v5, 8, v4
	v_bfe_u32 v6, v4, 20, 11
	v_and_or_b32 v3, v5, s7, v3
	v_sub_u32_e32 v7, 0x3f1, v6
	v_or_b32_e32 v5, 0x1000, v3
	v_med3_i32 v7, v7, 0, 13
	v_lshrrev_b32_e32 v10, v7, v5
	v_lshlrev_b32_e32 v7, v7, v10
	v_mul_f16_sdwa v8, v109, v8 dst_sel:DWORD dst_unused:UNUSED_PAD src0_sel:WORD_1 src1_sel:DWORD
	v_cmp_ne_u32_e32 vcc, v7, v5
	v_fma_f16 v8, v109, v9, -v8
	v_cndmask_b32_e64 v5, 0, 1, vcc
	v_add_u32_e32 v7, 0xfffffc10, v6
	v_cvt_f32_f16_e32 v8, v8
	v_or_b32_e32 v5, v10, v5
	v_lshl_or_b32 v6, v7, 12, v3
	v_cmp_gt_i32_e32 vcc, 1, v7
	v_cndmask_b32_e32 v5, v6, v5, vcc
	v_and_b32_e32 v6, 7, v5
	v_cmp_lt_i32_e32 vcc, 5, v6
	v_cmp_eq_u32_e64 s[0:1], 3, v6
	v_lshrrev_b32_e32 v9, 2, v5
	v_cvt_f64_f32_e32 v[5:6], v8
	s_or_b64 vcc, s[0:1], vcc
	v_addc_co_u32_e32 v8, vcc, 0, v9, vcc
	v_mul_f64 v[5:6], v[5:6], s[2:3]
	v_cmp_gt_i32_e32 vcc, 31, v7
	v_cndmask_b32_e32 v8, v0, v8, vcc
	v_cmp_ne_u32_e32 vcc, 0, v3
	v_cndmask_b32_e64 v3, 0, 1, vcc
	v_lshl_or_b32 v3, v3, 9, v0
	v_cmp_eq_u32_e32 vcc, s10, v7
	v_cndmask_b32_e32 v3, v8, v3, vcc
	v_lshrrev_b32_e32 v4, 16, v4
	v_and_or_b32 v9, v4, s11, v3
	v_and_or_b32 v3, v6, s6, v5
	v_cmp_ne_u32_e32 vcc, 0, v3
	v_cndmask_b32_e64 v3, 0, 1, vcc
	v_lshrrev_b32_e32 v4, 8, v6
	v_and_or_b32 v5, v4, s7, v3
	v_bfe_u32 v4, v6, 20, 11
	v_sub_u32_e32 v7, 0x3f1, v4
	v_or_b32_e32 v3, 0x1000, v5
	v_med3_i32 v7, v7, 0, 13
	v_lshrrev_b32_e32 v8, v7, v3
	v_lshlrev_b32_e32 v7, v7, v8
	v_cmp_ne_u32_e32 vcc, v7, v3
	v_cndmask_b32_e64 v3, 0, 1, vcc
	v_add_u32_e32 v7, 0xfffffc10, v4
	v_or_b32_e32 v3, v8, v3
	v_lshl_or_b32 v4, v7, 12, v5
	v_cmp_gt_i32_e32 vcc, 1, v7
	v_cndmask_b32_e32 v3, v4, v3, vcc
	v_and_b32_e32 v4, 7, v3
	v_cmp_lt_i32_e32 vcc, 5, v4
	v_cmp_eq_u32_e64 s[0:1], 3, v4
	v_lshrrev_b32_e32 v3, 2, v3
	s_or_b64 vcc, s[0:1], vcc
	v_addc_co_u32_e32 v8, vcc, 0, v3, vcc
	ds_read2_b32 v[3:4], v111 offset0:28 offset1:118
	v_cmp_gt_i32_e32 vcc, 31, v7
	v_cndmask_b32_e32 v8, v0, v8, vcc
	v_cmp_ne_u32_e32 vcc, 0, v5
	v_cndmask_b32_e64 v5, 0, 1, vcc
	s_waitcnt lgkmcnt(0)
	v_lshrrev_b32_e32 v10, 16, v3
	v_mul_f16_sdwa v11, v103, v10 dst_sel:DWORD dst_unused:UNUSED_PAD src0_sel:WORD_1 src1_sel:DWORD
	v_fma_f16 v11, v103, v3, v11
	v_cvt_f32_f16_e32 v11, v11
	v_lshl_or_b32 v5, v5, 9, v0
	v_cmp_eq_u32_e32 vcc, s10, v7
	v_cndmask_b32_e32 v5, v8, v5, vcc
	v_cvt_f64_f32_e32 v[7:8], v11
	v_lshrrev_b32_e32 v6, 16, v6
	v_and_or_b32 v11, v6, s11, v5
	v_add_co_u32_e32 v1, vcc, s5, v1
	v_mul_f64 v[5:6], v[7:8], s[2:3]
	v_mov_b32_e32 v8, s4
	v_and_b32_e32 v9, 0xffff, v9
	v_addc_co_u32_e32 v2, vcc, v2, v8, vcc
	v_lshl_or_b32 v7, v11, 16, v9
	global_store_dword v[1:2], v7, off
	v_mul_f16_sdwa v3, v103, v3 dst_sel:DWORD dst_unused:UNUSED_PAD src0_sel:WORD_1 src1_sel:DWORD
	v_and_or_b32 v5, v6, s6, v5
	v_cmp_ne_u32_e32 vcc, 0, v5
	v_cndmask_b32_e64 v5, 0, 1, vcc
	v_lshrrev_b32_e32 v7, 8, v6
	v_bfe_u32 v8, v6, 20, 11
	v_and_or_b32 v5, v7, s7, v5
	v_sub_u32_e32 v9, 0x3f1, v8
	v_or_b32_e32 v7, 0x1000, v5
	v_med3_i32 v9, v9, 0, 13
	v_lshrrev_b32_e32 v11, v9, v7
	v_lshlrev_b32_e32 v9, v9, v11
	v_cmp_ne_u32_e32 vcc, v9, v7
	v_fma_f16 v3, v103, v10, -v3
	v_cndmask_b32_e64 v7, 0, 1, vcc
	v_add_u32_e32 v9, 0xfffffc10, v8
	v_cvt_f32_f16_e32 v3, v3
	v_or_b32_e32 v7, v11, v7
	v_lshl_or_b32 v8, v9, 12, v5
	v_cmp_gt_i32_e32 vcc, 1, v9
	v_cndmask_b32_e32 v7, v8, v7, vcc
	v_and_b32_e32 v8, 7, v7
	v_cmp_lt_i32_e32 vcc, 5, v8
	v_cmp_eq_u32_e64 s[0:1], 3, v8
	v_lshrrev_b32_e32 v10, 2, v7
	v_cvt_f64_f32_e32 v[7:8], v3
	s_or_b64 vcc, s[0:1], vcc
	v_addc_co_u32_e32 v3, vcc, 0, v10, vcc
	v_mul_f64 v[7:8], v[7:8], s[2:3]
	v_cmp_gt_i32_e32 vcc, 31, v9
	v_cndmask_b32_e32 v3, v0, v3, vcc
	v_cmp_ne_u32_e32 vcc, 0, v5
	v_cndmask_b32_e64 v5, 0, 1, vcc
	v_lshl_or_b32 v5, v5, 9, v0
	v_cmp_eq_u32_e32 vcc, s10, v9
	v_cndmask_b32_e32 v3, v3, v5, vcc
	v_lshrrev_b32_e32 v5, 16, v6
	v_and_or_b32 v3, v5, s11, v3
	v_and_or_b32 v5, v8, s6, v7
	v_cmp_ne_u32_e32 vcc, 0, v5
	v_cndmask_b32_e64 v5, 0, 1, vcc
	v_lshrrev_b32_e32 v6, 8, v8
	v_and_or_b32 v7, v6, s7, v5
	v_bfe_u32 v6, v8, 20, 11
	v_sub_u32_e32 v9, 0x3f1, v6
	v_or_b32_e32 v5, 0x1000, v7
	v_med3_i32 v9, v9, 0, 13
	v_lshrrev_b32_e32 v10, v9, v5
	v_lshlrev_b32_e32 v9, v9, v10
	v_cmp_ne_u32_e32 vcc, v9, v5
	v_cndmask_b32_e64 v5, 0, 1, vcc
	v_add_u32_e32 v9, 0xfffffc10, v6
	v_or_b32_e32 v5, v10, v5
	v_lshl_or_b32 v6, v9, 12, v7
	v_cmp_gt_i32_e32 vcc, 1, v9
	v_cndmask_b32_e32 v5, v6, v5, vcc
	v_and_b32_e32 v6, 7, v5
	v_cmp_lt_i32_e32 vcc, 5, v6
	v_cmp_eq_u32_e64 s[0:1], 3, v6
	v_lshrrev_b32_e32 v5, 2, v5
	s_or_b64 vcc, s[0:1], vcc
	v_addc_co_u32_e32 v10, vcc, 0, v5, vcc
	ds_read2_b32 v[5:6], v108 offset0:160 offset1:250
	v_cmp_gt_i32_e32 vcc, 31, v9
	v_cndmask_b32_e32 v10, v0, v10, vcc
	v_cmp_ne_u32_e32 vcc, 0, v7
	v_cndmask_b32_e64 v7, 0, 1, vcc
	s_waitcnt lgkmcnt(0)
	v_lshrrev_b32_e32 v11, 16, v5
	v_mul_f16_sdwa v12, v105, v11 dst_sel:DWORD dst_unused:UNUSED_PAD src0_sel:WORD_1 src1_sel:DWORD
	v_fma_f16 v12, v105, v5, v12
	v_cvt_f32_f16_e32 v12, v12
	v_lshl_or_b32 v7, v7, 9, v0
	v_cmp_eq_u32_e32 vcc, s10, v9
	v_cndmask_b32_e32 v7, v10, v7, vcc
	v_cvt_f64_f32_e32 v[9:10], v12
	v_lshrrev_b32_e32 v8, 16, v8
	v_and_or_b32 v12, v8, s11, v7
	v_and_b32_e32 v3, 0xffff, v3
	v_mul_f64 v[7:8], v[9:10], s[2:3]
	v_mov_b32_e32 v9, s9
	v_add_co_u32_e32 v1, vcc, s8, v1
	v_lshl_or_b32 v3, v12, 16, v3
	v_addc_co_u32_e32 v2, vcc, v2, v9, vcc
	global_store_dword v[1:2], v3, off
	v_and_or_b32 v3, v8, s6, v7
	v_cmp_ne_u32_e32 vcc, 0, v3
	v_cndmask_b32_e64 v3, 0, 1, vcc
	v_lshrrev_b32_e32 v7, 8, v8
	v_bfe_u32 v9, v8, 20, 11
	v_and_or_b32 v3, v7, s7, v3
	v_sub_u32_e32 v10, 0x3f1, v9
	v_or_b32_e32 v7, 0x1000, v3
	v_med3_i32 v10, v10, 0, 13
	v_lshrrev_b32_e32 v12, v10, v7
	v_lshlrev_b32_e32 v10, v10, v12
	v_cmp_ne_u32_e32 vcc, v10, v7
	v_mul_f16_sdwa v5, v105, v5 dst_sel:DWORD dst_unused:UNUSED_PAD src0_sel:WORD_1 src1_sel:DWORD
	v_cndmask_b32_e64 v7, 0, 1, vcc
	v_fma_f16 v5, v105, v11, -v5
	v_or_b32_e32 v7, v12, v7
	v_add_u32_e32 v12, 0xfffffc10, v9
	v_cvt_f32_f16_e32 v5, v5
	v_lshl_or_b32 v9, v12, 12, v3
	v_cmp_gt_i32_e32 vcc, 1, v12
	v_cndmask_b32_e32 v7, v9, v7, vcc
	v_and_b32_e32 v9, 7, v7
	v_cmp_lt_i32_e32 vcc, 5, v9
	v_cmp_eq_u32_e64 s[0:1], 3, v9
	v_cvt_f64_f32_e32 v[9:10], v5
	v_lshrrev_b32_e32 v7, 2, v7
	s_or_b64 vcc, s[0:1], vcc
	v_addc_co_u32_e32 v5, vcc, 0, v7, vcc
	v_mul_f64 v[9:10], v[9:10], s[2:3]
	v_cmp_gt_i32_e32 vcc, 31, v12
	v_cndmask_b32_e32 v5, v0, v5, vcc
	v_cmp_ne_u32_e32 vcc, 0, v3
	v_cndmask_b32_e64 v3, 0, 1, vcc
	v_lshl_or_b32 v3, v3, 9, v0
	v_cmp_eq_u32_e32 vcc, s10, v12
	v_cndmask_b32_e32 v3, v5, v3, vcc
	v_lshrrev_b32_e32 v5, 16, v8
	v_and_or_b32 v3, v5, s11, v3
	v_and_or_b32 v5, v10, s6, v9
	v_cmp_ne_u32_e32 vcc, 0, v5
	v_cndmask_b32_e64 v5, 0, 1, vcc
	v_lshrrev_b32_e32 v7, 8, v10
	v_bfe_u32 v8, v10, 20, 11
	v_and_or_b32 v5, v7, s7, v5
	v_sub_u32_e32 v9, 0x3f1, v8
	v_or_b32_e32 v7, 0x1000, v5
	v_med3_i32 v9, v9, 0, 13
	v_lshrrev_b32_e32 v11, v9, v7
	v_lshlrev_b32_e32 v9, v9, v11
	v_cmp_ne_u32_e32 vcc, v9, v7
	v_cndmask_b32_e64 v7, 0, 1, vcc
	v_add_u32_e32 v9, 0xfffffc10, v8
	v_or_b32_e32 v7, v11, v7
	v_lshl_or_b32 v8, v9, 12, v5
	v_cmp_gt_i32_e32 vcc, 1, v9
	v_cndmask_b32_e32 v7, v8, v7, vcc
	v_and_b32_e32 v8, 7, v7
	v_cmp_lt_i32_e32 vcc, 5, v8
	v_cmp_eq_u32_e64 s[0:1], 3, v8
	v_lshrrev_b32_e32 v7, 2, v7
	s_or_b64 vcc, s[0:1], vcc
	v_addc_co_u32_e32 v11, vcc, 0, v7, vcc
	ds_read2_b32 v[7:8], v106 offset0:36 offset1:126
	v_cmp_gt_i32_e32 vcc, 31, v9
	v_cndmask_b32_e32 v11, v0, v11, vcc
	v_cmp_ne_u32_e32 vcc, 0, v5
	v_cndmask_b32_e64 v5, 0, 1, vcc
	s_waitcnt lgkmcnt(0)
	v_lshrrev_b32_e32 v13, 16, v7
	v_mul_f16_sdwa v12, v104, v13 dst_sel:DWORD dst_unused:UNUSED_PAD src0_sel:WORD_1 src1_sel:DWORD
	v_fma_f16 v12, v104, v7, v12
	v_cvt_f32_f16_e32 v12, v12
	v_lshl_or_b32 v5, v5, 9, v0
	v_cmp_eq_u32_e32 vcc, s10, v9
	v_cndmask_b32_e32 v5, v11, v5, vcc
	v_cvt_f64_f32_e32 v[11:12], v12
	v_lshrrev_b32_e32 v9, 16, v10
	v_and_or_b32 v5, v9, s11, v5
	v_and_b32_e32 v3, 0xffff, v3
	v_mul_f64 v[9:10], v[11:12], s[2:3]
	v_lshl_or_b32 v3, v5, 16, v3
	v_mov_b32_e32 v5, s4
	v_add_co_u32_e32 v1, vcc, s5, v1
	v_addc_co_u32_e32 v2, vcc, v2, v5, vcc
	global_store_dword v[1:2], v3, off
	v_and_or_b32 v3, v10, s6, v9
	v_cmp_ne_u32_e32 vcc, 0, v3
	v_cndmask_b32_e64 v3, 0, 1, vcc
	v_lshrrev_b32_e32 v5, 8, v10
	v_bfe_u32 v9, v10, 20, 11
	v_and_or_b32 v3, v5, s7, v3
	v_sub_u32_e32 v11, 0x3f1, v9
	v_or_b32_e32 v5, 0x1000, v3
	v_med3_i32 v11, v11, 0, 13
	v_lshrrev_b32_e32 v12, v11, v5
	v_lshlrev_b32_e32 v11, v11, v12
	v_mul_f16_sdwa v7, v104, v7 dst_sel:DWORD dst_unused:UNUSED_PAD src0_sel:WORD_1 src1_sel:DWORD
	v_cmp_ne_u32_e32 vcc, v11, v5
	v_fma_f16 v7, v104, v13, -v7
	v_cndmask_b32_e64 v5, 0, 1, vcc
	v_add_u32_e32 v9, 0xfffffc10, v9
	v_cvt_f32_f16_e32 v7, v7
	v_or_b32_e32 v5, v12, v5
	v_lshl_or_b32 v11, v9, 12, v3
	v_cmp_gt_i32_e32 vcc, 1, v9
	v_cndmask_b32_e32 v5, v11, v5, vcc
	v_and_b32_e32 v11, 7, v5
	v_cmp_lt_i32_e32 vcc, 5, v11
	v_cmp_eq_u32_e64 s[0:1], 3, v11
	v_cvt_f64_f32_e32 v[11:12], v7
	v_lshrrev_b32_e32 v5, 2, v5
	s_or_b64 vcc, s[0:1], vcc
	v_addc_co_u32_e32 v5, vcc, 0, v5, vcc
	v_mul_f64 v[11:12], v[11:12], s[2:3]
	v_cmp_gt_i32_e32 vcc, 31, v9
	v_cndmask_b32_e32 v5, v0, v5, vcc
	v_cmp_ne_u32_e32 vcc, 0, v3
	v_cndmask_b32_e64 v3, 0, 1, vcc
	v_lshl_or_b32 v3, v3, 9, v0
	v_cmp_eq_u32_e32 vcc, s10, v9
	v_cndmask_b32_e32 v3, v5, v3, vcc
	v_lshrrev_b32_e32 v5, 16, v10
	v_and_or_b32 v3, v5, s11, v3
	v_and_or_b32 v5, v12, s6, v11
	v_cmp_ne_u32_e32 vcc, 0, v5
	v_cndmask_b32_e64 v5, 0, 1, vcc
	v_lshrrev_b32_e32 v7, 8, v12
	v_bfe_u32 v9, v12, 20, 11
	v_and_or_b32 v5, v7, s7, v5
	v_sub_u32_e32 v10, 0x3f1, v9
	v_or_b32_e32 v7, 0x1000, v5
	v_med3_i32 v10, v10, 0, 13
	v_lshrrev_b32_e32 v11, v10, v7
	v_lshlrev_b32_e32 v10, v10, v11
	v_cmp_ne_u32_e32 vcc, v10, v7
	v_cndmask_b32_e64 v7, 0, 1, vcc
	v_add_u32_e32 v9, 0xfffffc10, v9
	v_or_b32_e32 v7, v11, v7
	v_lshl_or_b32 v10, v9, 12, v5
	v_cmp_gt_i32_e32 vcc, 1, v9
	v_cndmask_b32_e32 v7, v10, v7, vcc
	v_and_b32_e32 v10, 7, v7
	v_lshrrev_b32_e32 v11, 16, v4
	v_cmp_lt_i32_e32 vcc, 5, v10
	v_cmp_eq_u32_e64 s[0:1], 3, v10
	v_mul_f16_sdwa v10, v97, v11 dst_sel:DWORD dst_unused:UNUSED_PAD src0_sel:WORD_1 src1_sel:DWORD
	v_fma_f16 v10, v97, v4, v10
	v_lshrrev_b32_e32 v7, 2, v7
	s_or_b64 vcc, s[0:1], vcc
	v_cvt_f32_f16_e32 v10, v10
	v_addc_co_u32_e32 v7, vcc, 0, v7, vcc
	v_cmp_gt_i32_e32 vcc, 31, v9
	v_cndmask_b32_e32 v7, v0, v7, vcc
	v_cmp_ne_u32_e32 vcc, 0, v5
	v_cndmask_b32_e64 v5, 0, 1, vcc
	v_cmp_eq_u32_e32 vcc, s10, v9
	v_cvt_f64_f32_e32 v[9:10], v10
	v_lshl_or_b32 v5, v5, 9, v0
	v_cndmask_b32_e32 v5, v7, v5, vcc
	v_lshrrev_b32_e32 v7, 16, v12
	v_mul_f64 v[9:10], v[9:10], s[2:3]
	v_and_or_b32 v5, v7, s11, v5
	v_and_b32_e32 v3, 0xffff, v3
	v_lshl_or_b32 v3, v5, 16, v3
	v_mov_b32_e32 v5, s4
	v_add_co_u32_e32 v1, vcc, s5, v1
	v_addc_co_u32_e32 v2, vcc, v2, v5, vcc
	global_store_dword v[1:2], v3, off
	v_and_or_b32 v3, v10, s6, v9
	v_cmp_ne_u32_e32 vcc, 0, v3
	v_cndmask_b32_e64 v3, 0, 1, vcc
	v_lshrrev_b32_e32 v5, 8, v10
	v_bfe_u32 v7, v10, 20, 11
	v_and_or_b32 v5, v5, s7, v3
	v_sub_u32_e32 v9, 0x3f1, v7
	v_or_b32_e32 v3, 0x1000, v5
	v_med3_i32 v9, v9, 0, 13
	v_lshrrev_b32_e32 v12, v9, v3
	v_lshlrev_b32_e32 v9, v9, v12
	v_mul_f16_sdwa v4, v97, v4 dst_sel:DWORD dst_unused:UNUSED_PAD src0_sel:WORD_1 src1_sel:DWORD
	v_cmp_ne_u32_e32 vcc, v9, v3
	v_fma_f16 v4, v97, v11, -v4
	v_cndmask_b32_e64 v3, 0, 1, vcc
	v_add_u32_e32 v7, 0xfffffc10, v7
	v_cvt_f32_f16_e32 v4, v4
	v_or_b32_e32 v3, v12, v3
	v_lshl_or_b32 v9, v7, 12, v5
	v_cmp_gt_i32_e32 vcc, 1, v7
	v_cndmask_b32_e32 v3, v9, v3, vcc
	v_and_b32_e32 v9, 7, v3
	v_cmp_lt_i32_e32 vcc, 5, v9
	v_cmp_eq_u32_e64 s[0:1], 3, v9
	v_lshrrev_b32_e32 v9, 2, v3
	v_cvt_f64_f32_e32 v[3:4], v4
	s_or_b64 vcc, s[0:1], vcc
	v_addc_co_u32_e32 v9, vcc, 0, v9, vcc
	v_mul_f64 v[3:4], v[3:4], s[2:3]
	v_cmp_gt_i32_e32 vcc, 31, v7
	v_cndmask_b32_e32 v9, v0, v9, vcc
	v_cmp_ne_u32_e32 vcc, 0, v5
	v_cndmask_b32_e64 v5, 0, 1, vcc
	v_lshl_or_b32 v5, v5, 9, v0
	v_cmp_eq_u32_e32 vcc, s10, v7
	v_cndmask_b32_e32 v5, v9, v5, vcc
	v_and_or_b32 v3, v4, s6, v3
	v_lshrrev_b32_e32 v7, 16, v10
	v_cmp_ne_u32_e32 vcc, 0, v3
	v_and_or_b32 v5, v7, s11, v5
	v_cndmask_b32_e64 v3, 0, 1, vcc
	v_lshrrev_b32_e32 v7, 8, v4
	v_bfe_u32 v9, v4, 20, 11
	v_and_or_b32 v3, v7, s7, v3
	v_sub_u32_e32 v10, 0x3f1, v9
	v_or_b32_e32 v7, 0x1000, v3
	v_med3_i32 v10, v10, 0, 13
	v_lshrrev_b32_e32 v11, v10, v7
	v_lshlrev_b32_e32 v10, v10, v11
	v_cmp_ne_u32_e32 vcc, v10, v7
	v_cndmask_b32_e64 v7, 0, 1, vcc
	v_add_u32_e32 v9, 0xfffffc10, v9
	v_or_b32_e32 v7, v11, v7
	v_lshl_or_b32 v10, v9, 12, v3
	v_cmp_gt_i32_e32 vcc, 1, v9
	v_cndmask_b32_e32 v7, v10, v7, vcc
	v_and_b32_e32 v10, 7, v7
	v_lshrrev_b32_e32 v11, 16, v6
	v_cmp_lt_i32_e32 vcc, 5, v10
	v_cmp_eq_u32_e64 s[0:1], 3, v10
	v_mul_f16_sdwa v10, v99, v11 dst_sel:DWORD dst_unused:UNUSED_PAD src0_sel:WORD_1 src1_sel:DWORD
	v_fma_f16 v10, v99, v6, v10
	v_lshrrev_b32_e32 v7, 2, v7
	s_or_b64 vcc, s[0:1], vcc
	v_cvt_f32_f16_e32 v10, v10
	v_addc_co_u32_e32 v7, vcc, 0, v7, vcc
	v_cmp_gt_i32_e32 vcc, 31, v9
	v_cndmask_b32_e32 v7, v0, v7, vcc
	v_cmp_ne_u32_e32 vcc, 0, v3
	v_cndmask_b32_e64 v3, 0, 1, vcc
	v_cmp_eq_u32_e32 vcc, s10, v9
	v_cvt_f64_f32_e32 v[9:10], v10
	v_lshl_or_b32 v3, v3, 9, v0
	v_cndmask_b32_e32 v3, v7, v3, vcc
	v_lshrrev_b32_e32 v4, 16, v4
	v_and_or_b32 v7, v4, s11, v3
	v_mul_f64 v[3:4], v[9:10], s[2:3]
	v_and_b32_e32 v5, 0xffff, v5
	v_lshl_or_b32 v5, v7, 16, v5
	v_mov_b32_e32 v7, s9
	v_add_co_u32_e32 v1, vcc, s8, v1
	v_addc_co_u32_e32 v2, vcc, v2, v7, vcc
	v_and_or_b32 v3, v4, s6, v3
	v_cmp_ne_u32_e32 vcc, 0, v3
	global_store_dword v[1:2], v5, off
	v_cndmask_b32_e64 v3, 0, 1, vcc
	v_lshrrev_b32_e32 v5, 8, v4
	v_bfe_u32 v7, v4, 20, 11
	v_and_or_b32 v3, v5, s7, v3
	v_sub_u32_e32 v9, 0x3f1, v7
	v_or_b32_e32 v5, 0x1000, v3
	v_med3_i32 v9, v9, 0, 13
	v_lshrrev_b32_e32 v10, v9, v5
	v_lshlrev_b32_e32 v9, v9, v10
	v_mul_f16_sdwa v6, v99, v6 dst_sel:DWORD dst_unused:UNUSED_PAD src0_sel:WORD_1 src1_sel:DWORD
	v_cmp_ne_u32_e32 vcc, v9, v5
	v_fma_f16 v6, v99, v11, -v6
	v_cndmask_b32_e64 v5, 0, 1, vcc
	v_add_u32_e32 v7, 0xfffffc10, v7
	v_cvt_f32_f16_e32 v6, v6
	v_or_b32_e32 v5, v10, v5
	v_lshl_or_b32 v9, v7, 12, v3
	v_cmp_gt_i32_e32 vcc, 1, v7
	v_cndmask_b32_e32 v5, v9, v5, vcc
	v_and_b32_e32 v9, 7, v5
	v_cmp_lt_i32_e32 vcc, 5, v9
	v_cmp_eq_u32_e64 s[0:1], 3, v9
	v_lshrrev_b32_e32 v9, 2, v5
	v_cvt_f64_f32_e32 v[5:6], v6
	s_or_b64 vcc, s[0:1], vcc
	v_addc_co_u32_e32 v9, vcc, 0, v9, vcc
	v_mul_f64 v[5:6], v[5:6], s[2:3]
	v_cmp_gt_i32_e32 vcc, 31, v7
	v_cndmask_b32_e32 v9, v0, v9, vcc
	v_cmp_ne_u32_e32 vcc, 0, v3
	v_cndmask_b32_e64 v3, 0, 1, vcc
	v_lshl_or_b32 v3, v3, 9, v0
	v_cmp_eq_u32_e32 vcc, s10, v7
	v_cndmask_b32_e32 v3, v9, v3, vcc
	v_lshrrev_b32_e32 v4, 16, v4
	v_and_or_b32 v7, v4, s11, v3
	v_and_or_b32 v3, v6, s6, v5
	v_cmp_ne_u32_e32 vcc, 0, v3
	v_cndmask_b32_e64 v3, 0, 1, vcc
	v_lshrrev_b32_e32 v4, 8, v6
	v_bfe_u32 v5, v6, 20, 11
	v_and_or_b32 v3, v4, s7, v3
	v_sub_u32_e32 v9, 0x3f1, v5
	v_or_b32_e32 v4, 0x1000, v3
	v_med3_i32 v9, v9, 0, 13
	v_lshrrev_b32_e32 v10, v9, v4
	v_lshlrev_b32_e32 v9, v9, v10
	v_cmp_ne_u32_e32 vcc, v9, v4
	v_cndmask_b32_e64 v4, 0, 1, vcc
	v_add_u32_e32 v5, 0xfffffc10, v5
	v_or_b32_e32 v4, v10, v4
	v_lshl_or_b32 v9, v5, 12, v3
	v_cmp_gt_i32_e32 vcc, 1, v5
	v_cndmask_b32_e32 v4, v9, v4, vcc
	v_and_b32_e32 v9, 7, v4
	v_cmp_lt_i32_e32 vcc, 5, v9
	v_cmp_eq_u32_e64 s[0:1], 3, v9
	v_lshrrev_b32_e32 v9, 16, v8
	v_lshrrev_b32_e32 v4, 2, v4
	s_or_b64 vcc, s[0:1], vcc
	v_mul_f16_sdwa v10, v98, v9 dst_sel:DWORD dst_unused:UNUSED_PAD src0_sel:WORD_1 src1_sel:DWORD
	v_addc_co_u32_e32 v4, vcc, 0, v4, vcc
	v_fma_f16 v10, v98, v8, v10
	v_cmp_gt_i32_e32 vcc, 31, v5
	v_cvt_f32_f16_e32 v10, v10
	v_cndmask_b32_e32 v4, v0, v4, vcc
	v_cmp_ne_u32_e32 vcc, 0, v3
	v_cndmask_b32_e64 v3, 0, 1, vcc
	v_lshl_or_b32 v3, v3, 9, v0
	v_cmp_eq_u32_e32 vcc, s10, v5
	v_cndmask_b32_e32 v5, v4, v3, vcc
	v_cvt_f64_f32_e32 v[3:4], v10
	v_lshrrev_b32_e32 v6, 16, v6
	v_and_or_b32 v5, v6, s11, v5
	v_and_b32_e32 v6, 0xffff, v7
	v_mul_f64 v[3:4], v[3:4], s[2:3]
	v_lshl_or_b32 v5, v5, 16, v6
	v_mov_b32_e32 v6, s4
	v_add_co_u32_e32 v1, vcc, s5, v1
	v_addc_co_u32_e32 v2, vcc, v2, v6, vcc
	global_store_dword v[1:2], v5, off
	v_and_or_b32 v3, v4, s6, v3
	v_cmp_ne_u32_e32 vcc, 0, v3
	v_cndmask_b32_e64 v3, 0, 1, vcc
	v_lshrrev_b32_e32 v5, 8, v4
	v_bfe_u32 v6, v4, 20, 11
	v_and_or_b32 v3, v5, s7, v3
	v_sub_u32_e32 v7, 0x3f1, v6
	v_or_b32_e32 v5, 0x1000, v3
	v_med3_i32 v7, v7, 0, 13
	v_lshrrev_b32_e32 v10, v7, v5
	v_lshlrev_b32_e32 v7, v7, v10
	v_mul_f16_sdwa v8, v98, v8 dst_sel:DWORD dst_unused:UNUSED_PAD src0_sel:WORD_1 src1_sel:DWORD
	v_cmp_ne_u32_e32 vcc, v7, v5
	v_fma_f16 v8, v98, v9, -v8
	v_cndmask_b32_e64 v5, 0, 1, vcc
	v_add_u32_e32 v7, 0xfffffc10, v6
	v_cvt_f32_f16_e32 v8, v8
	v_or_b32_e32 v5, v10, v5
	v_lshl_or_b32 v6, v7, 12, v3
	v_cmp_gt_i32_e32 vcc, 1, v7
	v_cndmask_b32_e32 v5, v6, v5, vcc
	v_and_b32_e32 v6, 7, v5
	v_cmp_lt_i32_e32 vcc, 5, v6
	v_cmp_eq_u32_e64 s[0:1], 3, v6
	v_lshrrev_b32_e32 v9, 2, v5
	v_cvt_f64_f32_e32 v[5:6], v8
	s_or_b64 vcc, s[0:1], vcc
	v_addc_co_u32_e32 v8, vcc, 0, v9, vcc
	v_mul_f64 v[5:6], v[5:6], s[2:3]
	v_cmp_gt_i32_e32 vcc, 31, v7
	v_cndmask_b32_e32 v8, v0, v8, vcc
	v_cmp_ne_u32_e32 vcc, 0, v3
	v_cndmask_b32_e64 v3, 0, 1, vcc
	v_lshl_or_b32 v3, v3, 9, v0
	v_cmp_eq_u32_e32 vcc, s10, v7
	v_cndmask_b32_e32 v3, v8, v3, vcc
	v_lshrrev_b32_e32 v4, 16, v4
	v_and_or_b32 v9, v4, s11, v3
	v_and_or_b32 v3, v6, s6, v5
	v_cmp_ne_u32_e32 vcc, 0, v3
	v_cndmask_b32_e64 v3, 0, 1, vcc
	v_lshrrev_b32_e32 v4, 8, v6
	v_and_or_b32 v5, v4, s7, v3
	v_bfe_u32 v4, v6, 20, 11
	v_sub_u32_e32 v7, 0x3f1, v4
	v_or_b32_e32 v3, 0x1000, v5
	v_med3_i32 v7, v7, 0, 13
	v_lshrrev_b32_e32 v8, v7, v3
	v_lshlrev_b32_e32 v7, v7, v8
	v_cmp_ne_u32_e32 vcc, v7, v3
	v_cndmask_b32_e64 v3, 0, 1, vcc
	v_add_u32_e32 v7, 0xfffffc10, v4
	v_or_b32_e32 v3, v8, v3
	v_lshl_or_b32 v4, v7, 12, v5
	v_cmp_gt_i32_e32 vcc, 1, v7
	v_cndmask_b32_e32 v3, v4, v3, vcc
	v_and_b32_e32 v4, 7, v3
	v_cmp_lt_i32_e32 vcc, 5, v4
	v_cmp_eq_u32_e64 s[0:1], 3, v4
	v_lshrrev_b32_e32 v3, 2, v3
	s_or_b64 vcc, s[0:1], vcc
	v_addc_co_u32_e32 v8, vcc, 0, v3, vcc
	ds_read2_b32 v[3:4], v100 offset0:80 offset1:170
	v_cmp_gt_i32_e32 vcc, 31, v7
	v_cndmask_b32_e32 v8, v0, v8, vcc
	v_cmp_ne_u32_e32 vcc, 0, v5
	v_cndmask_b32_e64 v5, 0, 1, vcc
	s_waitcnt lgkmcnt(0)
	v_lshrrev_b32_e32 v10, 16, v3
	v_mul_f16_sdwa v11, v95, v10 dst_sel:DWORD dst_unused:UNUSED_PAD src0_sel:WORD_1 src1_sel:DWORD
	v_fma_f16 v11, v95, v3, v11
	v_cvt_f32_f16_e32 v11, v11
	v_lshl_or_b32 v5, v5, 9, v0
	v_cmp_eq_u32_e32 vcc, s10, v7
	v_cndmask_b32_e32 v5, v8, v5, vcc
	v_cvt_f64_f32_e32 v[7:8], v11
	v_lshrrev_b32_e32 v6, 16, v6
	v_and_or_b32 v11, v6, s11, v5
	v_add_co_u32_e32 v1, vcc, s5, v1
	v_mul_f64 v[5:6], v[7:8], s[2:3]
	v_mov_b32_e32 v8, s4
	v_and_b32_e32 v9, 0xffff, v9
	v_addc_co_u32_e32 v2, vcc, v2, v8, vcc
	v_lshl_or_b32 v7, v11, 16, v9
	global_store_dword v[1:2], v7, off
	v_mul_f16_sdwa v3, v95, v3 dst_sel:DWORD dst_unused:UNUSED_PAD src0_sel:WORD_1 src1_sel:DWORD
	v_and_or_b32 v5, v6, s6, v5
	v_cmp_ne_u32_e32 vcc, 0, v5
	v_cndmask_b32_e64 v5, 0, 1, vcc
	v_lshrrev_b32_e32 v7, 8, v6
	v_bfe_u32 v8, v6, 20, 11
	v_and_or_b32 v5, v7, s7, v5
	v_sub_u32_e32 v9, 0x3f1, v8
	v_or_b32_e32 v7, 0x1000, v5
	v_med3_i32 v9, v9, 0, 13
	v_lshrrev_b32_e32 v11, v9, v7
	v_lshlrev_b32_e32 v9, v9, v11
	v_cmp_ne_u32_e32 vcc, v9, v7
	v_fma_f16 v3, v95, v10, -v3
	v_cndmask_b32_e64 v7, 0, 1, vcc
	v_add_u32_e32 v9, 0xfffffc10, v8
	v_cvt_f32_f16_e32 v3, v3
	v_or_b32_e32 v7, v11, v7
	v_lshl_or_b32 v8, v9, 12, v5
	v_cmp_gt_i32_e32 vcc, 1, v9
	v_cndmask_b32_e32 v7, v8, v7, vcc
	v_and_b32_e32 v8, 7, v7
	v_cmp_lt_i32_e32 vcc, 5, v8
	v_cmp_eq_u32_e64 s[0:1], 3, v8
	v_lshrrev_b32_e32 v10, 2, v7
	v_cvt_f64_f32_e32 v[7:8], v3
	s_or_b64 vcc, s[0:1], vcc
	v_addc_co_u32_e32 v3, vcc, 0, v10, vcc
	v_mul_f64 v[7:8], v[7:8], s[2:3]
	v_cmp_gt_i32_e32 vcc, 31, v9
	v_cndmask_b32_e32 v3, v0, v3, vcc
	v_cmp_ne_u32_e32 vcc, 0, v5
	v_cndmask_b32_e64 v5, 0, 1, vcc
	v_lshl_or_b32 v5, v5, 9, v0
	v_cmp_eq_u32_e32 vcc, s10, v9
	v_cndmask_b32_e32 v3, v3, v5, vcc
	v_lshrrev_b32_e32 v5, 16, v6
	v_and_or_b32 v3, v5, s11, v3
	v_and_or_b32 v5, v8, s6, v7
	v_cmp_ne_u32_e32 vcc, 0, v5
	v_cndmask_b32_e64 v5, 0, 1, vcc
	v_lshrrev_b32_e32 v6, 8, v8
	v_and_or_b32 v7, v6, s7, v5
	v_bfe_u32 v6, v8, 20, 11
	v_sub_u32_e32 v9, 0x3f1, v6
	v_or_b32_e32 v5, 0x1000, v7
	v_med3_i32 v9, v9, 0, 13
	v_lshrrev_b32_e32 v10, v9, v5
	v_lshlrev_b32_e32 v9, v9, v10
	v_cmp_ne_u32_e32 vcc, v9, v5
	v_cndmask_b32_e64 v5, 0, 1, vcc
	v_add_u32_e32 v9, 0xfffffc10, v6
	v_or_b32_e32 v5, v10, v5
	v_lshl_or_b32 v6, v9, 12, v7
	v_cmp_gt_i32_e32 vcc, 1, v9
	v_cndmask_b32_e32 v5, v6, v5, vcc
	v_and_b32_e32 v6, 7, v5
	v_cmp_lt_i32_e32 vcc, 5, v6
	v_cmp_eq_u32_e64 s[0:1], 3, v6
	v_lshrrev_b32_e32 v5, 2, v5
	s_or_b64 vcc, s[0:1], vcc
	v_addc_co_u32_e32 v10, vcc, 0, v5, vcc
	ds_read2_b32 v[5:6], v102 offset0:84 offset1:174
	v_cmp_gt_i32_e32 vcc, 31, v9
	v_cndmask_b32_e32 v10, v0, v10, vcc
	v_cmp_ne_u32_e32 vcc, 0, v7
	v_cndmask_b32_e64 v7, 0, 1, vcc
	s_waitcnt lgkmcnt(0)
	v_lshrrev_b32_e32 v11, 16, v5
	v_mul_f16_sdwa v12, v96, v11 dst_sel:DWORD dst_unused:UNUSED_PAD src0_sel:WORD_1 src1_sel:DWORD
	v_fma_f16 v12, v96, v5, v12
	v_cvt_f32_f16_e32 v12, v12
	v_lshl_or_b32 v7, v7, 9, v0
	v_cmp_eq_u32_e32 vcc, s10, v9
	v_cndmask_b32_e32 v7, v10, v7, vcc
	v_cvt_f64_f32_e32 v[9:10], v12
	v_lshrrev_b32_e32 v8, 16, v8
	v_and_or_b32 v12, v8, s11, v7
	v_and_b32_e32 v3, 0xffff, v3
	v_mul_f64 v[7:8], v[9:10], s[2:3]
	v_mov_b32_e32 v9, s9
	v_add_co_u32_e32 v1, vcc, s8, v1
	v_lshl_or_b32 v3, v12, 16, v3
	v_addc_co_u32_e32 v2, vcc, v2, v9, vcc
	global_store_dword v[1:2], v3, off
	v_and_or_b32 v3, v8, s6, v7
	v_cmp_ne_u32_e32 vcc, 0, v3
	v_cndmask_b32_e64 v3, 0, 1, vcc
	v_lshrrev_b32_e32 v7, 8, v8
	v_bfe_u32 v9, v8, 20, 11
	v_and_or_b32 v3, v7, s7, v3
	v_sub_u32_e32 v10, 0x3f1, v9
	v_or_b32_e32 v7, 0x1000, v3
	v_med3_i32 v10, v10, 0, 13
	v_lshrrev_b32_e32 v12, v10, v7
	v_lshlrev_b32_e32 v10, v10, v12
	v_cmp_ne_u32_e32 vcc, v10, v7
	v_mul_f16_sdwa v5, v96, v5 dst_sel:DWORD dst_unused:UNUSED_PAD src0_sel:WORD_1 src1_sel:DWORD
	v_cndmask_b32_e64 v7, 0, 1, vcc
	v_fma_f16 v5, v96, v11, -v5
	v_or_b32_e32 v7, v12, v7
	v_add_u32_e32 v12, 0xfffffc10, v9
	v_cvt_f32_f16_e32 v5, v5
	v_lshl_or_b32 v9, v12, 12, v3
	v_cmp_gt_i32_e32 vcc, 1, v12
	v_cndmask_b32_e32 v7, v9, v7, vcc
	v_and_b32_e32 v9, 7, v7
	v_cmp_lt_i32_e32 vcc, 5, v9
	v_cmp_eq_u32_e64 s[0:1], 3, v9
	v_cvt_f64_f32_e32 v[9:10], v5
	v_lshrrev_b32_e32 v7, 2, v7
	s_or_b64 vcc, s[0:1], vcc
	v_addc_co_u32_e32 v5, vcc, 0, v7, vcc
	v_mul_f64 v[9:10], v[9:10], s[2:3]
	v_cmp_gt_i32_e32 vcc, 31, v12
	v_cndmask_b32_e32 v5, v0, v5, vcc
	v_cmp_ne_u32_e32 vcc, 0, v3
	v_cndmask_b32_e64 v3, 0, 1, vcc
	v_lshl_or_b32 v3, v3, 9, v0
	v_cmp_eq_u32_e32 vcc, s10, v12
	v_cndmask_b32_e32 v3, v5, v3, vcc
	v_lshrrev_b32_e32 v5, 16, v8
	v_and_or_b32 v3, v5, s11, v3
	v_and_or_b32 v5, v10, s6, v9
	v_cmp_ne_u32_e32 vcc, 0, v5
	v_cndmask_b32_e64 v5, 0, 1, vcc
	v_lshrrev_b32_e32 v7, 8, v10
	v_bfe_u32 v8, v10, 20, 11
	v_and_or_b32 v5, v7, s7, v5
	v_sub_u32_e32 v9, 0x3f1, v8
	v_or_b32_e32 v7, 0x1000, v5
	v_med3_i32 v9, v9, 0, 13
	v_lshrrev_b32_e32 v11, v9, v7
	v_lshlrev_b32_e32 v9, v9, v11
	v_cmp_ne_u32_e32 vcc, v9, v7
	v_cndmask_b32_e64 v7, 0, 1, vcc
	v_add_u32_e32 v9, 0xfffffc10, v8
	v_or_b32_e32 v7, v11, v7
	v_lshl_or_b32 v8, v9, 12, v5
	v_cmp_gt_i32_e32 vcc, 1, v9
	v_cndmask_b32_e32 v7, v8, v7, vcc
	v_and_b32_e32 v8, 7, v7
	v_cmp_lt_i32_e32 vcc, 5, v8
	v_cmp_eq_u32_e64 s[0:1], 3, v8
	v_lshrrev_b32_e32 v7, 2, v7
	s_or_b64 vcc, s[0:1], vcc
	v_addc_co_u32_e32 v11, vcc, 0, v7, vcc
	ds_read2_b32 v[7:8], v101 offset0:88 offset1:178
	v_cmp_gt_i32_e32 vcc, 31, v9
	v_cndmask_b32_e32 v11, v0, v11, vcc
	v_cmp_ne_u32_e32 vcc, 0, v5
	v_cndmask_b32_e64 v5, 0, 1, vcc
	s_waitcnt lgkmcnt(0)
	v_lshrrev_b32_e32 v13, 16, v7
	v_mul_f16_sdwa v12, v94, v13 dst_sel:DWORD dst_unused:UNUSED_PAD src0_sel:WORD_1 src1_sel:DWORD
	v_fma_f16 v12, v94, v7, v12
	v_cvt_f32_f16_e32 v12, v12
	v_lshl_or_b32 v5, v5, 9, v0
	v_cmp_eq_u32_e32 vcc, s10, v9
	v_cndmask_b32_e32 v5, v11, v5, vcc
	v_cvt_f64_f32_e32 v[11:12], v12
	v_lshrrev_b32_e32 v9, 16, v10
	v_and_or_b32 v5, v9, s11, v5
	v_and_b32_e32 v3, 0xffff, v3
	v_mul_f64 v[9:10], v[11:12], s[2:3]
	v_lshl_or_b32 v3, v5, 16, v3
	v_mov_b32_e32 v5, s4
	v_add_co_u32_e32 v1, vcc, s5, v1
	v_addc_co_u32_e32 v2, vcc, v2, v5, vcc
	global_store_dword v[1:2], v3, off
	v_and_or_b32 v3, v10, s6, v9
	v_cmp_ne_u32_e32 vcc, 0, v3
	v_cndmask_b32_e64 v3, 0, 1, vcc
	v_lshrrev_b32_e32 v5, 8, v10
	v_bfe_u32 v9, v10, 20, 11
	v_and_or_b32 v3, v5, s7, v3
	v_sub_u32_e32 v11, 0x3f1, v9
	v_or_b32_e32 v5, 0x1000, v3
	v_med3_i32 v11, v11, 0, 13
	v_lshrrev_b32_e32 v12, v11, v5
	v_lshlrev_b32_e32 v11, v11, v12
	v_mul_f16_sdwa v7, v94, v7 dst_sel:DWORD dst_unused:UNUSED_PAD src0_sel:WORD_1 src1_sel:DWORD
	v_cmp_ne_u32_e32 vcc, v11, v5
	v_fma_f16 v7, v94, v13, -v7
	v_cndmask_b32_e64 v5, 0, 1, vcc
	v_add_u32_e32 v9, 0xfffffc10, v9
	v_cvt_f32_f16_e32 v7, v7
	v_or_b32_e32 v5, v12, v5
	v_lshl_or_b32 v11, v9, 12, v3
	v_cmp_gt_i32_e32 vcc, 1, v9
	v_cndmask_b32_e32 v5, v11, v5, vcc
	v_and_b32_e32 v11, 7, v5
	v_cmp_lt_i32_e32 vcc, 5, v11
	v_cmp_eq_u32_e64 s[0:1], 3, v11
	v_cvt_f64_f32_e32 v[11:12], v7
	v_lshrrev_b32_e32 v5, 2, v5
	s_or_b64 vcc, s[0:1], vcc
	v_addc_co_u32_e32 v5, vcc, 0, v5, vcc
	v_mul_f64 v[11:12], v[11:12], s[2:3]
	v_cmp_gt_i32_e32 vcc, 31, v9
	v_cndmask_b32_e32 v5, v0, v5, vcc
	v_cmp_ne_u32_e32 vcc, 0, v3
	v_cndmask_b32_e64 v3, 0, 1, vcc
	v_lshl_or_b32 v3, v3, 9, v0
	v_cmp_eq_u32_e32 vcc, s10, v9
	v_cndmask_b32_e32 v3, v5, v3, vcc
	v_lshrrev_b32_e32 v5, 16, v10
	v_and_or_b32 v3, v5, s11, v3
	v_and_or_b32 v5, v12, s6, v11
	v_cmp_ne_u32_e32 vcc, 0, v5
	v_cndmask_b32_e64 v5, 0, 1, vcc
	v_lshrrev_b32_e32 v7, 8, v12
	v_bfe_u32 v9, v12, 20, 11
	v_and_or_b32 v5, v7, s7, v5
	v_sub_u32_e32 v10, 0x3f1, v9
	v_or_b32_e32 v7, 0x1000, v5
	v_med3_i32 v10, v10, 0, 13
	v_lshrrev_b32_e32 v11, v10, v7
	v_lshlrev_b32_e32 v10, v10, v11
	v_cmp_ne_u32_e32 vcc, v10, v7
	v_cndmask_b32_e64 v7, 0, 1, vcc
	v_add_u32_e32 v9, 0xfffffc10, v9
	v_or_b32_e32 v7, v11, v7
	v_lshl_or_b32 v10, v9, 12, v5
	v_cmp_gt_i32_e32 vcc, 1, v9
	v_cndmask_b32_e32 v7, v10, v7, vcc
	v_and_b32_e32 v10, 7, v7
	v_lshrrev_b32_e32 v11, 16, v4
	v_cmp_lt_i32_e32 vcc, 5, v10
	v_cmp_eq_u32_e64 s[0:1], 3, v10
	v_mul_f16_sdwa v10, v92, v11 dst_sel:DWORD dst_unused:UNUSED_PAD src0_sel:WORD_1 src1_sel:DWORD
	v_fma_f16 v10, v92, v4, v10
	v_lshrrev_b32_e32 v7, 2, v7
	s_or_b64 vcc, s[0:1], vcc
	v_cvt_f32_f16_e32 v10, v10
	v_addc_co_u32_e32 v7, vcc, 0, v7, vcc
	v_cmp_gt_i32_e32 vcc, 31, v9
	v_cndmask_b32_e32 v7, v0, v7, vcc
	v_cmp_ne_u32_e32 vcc, 0, v5
	v_cndmask_b32_e64 v5, 0, 1, vcc
	v_cmp_eq_u32_e32 vcc, s10, v9
	v_cvt_f64_f32_e32 v[9:10], v10
	v_lshl_or_b32 v5, v5, 9, v0
	v_cndmask_b32_e32 v5, v7, v5, vcc
	v_lshrrev_b32_e32 v7, 16, v12
	v_mul_f64 v[9:10], v[9:10], s[2:3]
	v_and_or_b32 v5, v7, s11, v5
	v_and_b32_e32 v3, 0xffff, v3
	v_lshl_or_b32 v3, v5, 16, v3
	v_mov_b32_e32 v5, s4
	v_add_co_u32_e32 v1, vcc, s5, v1
	v_addc_co_u32_e32 v2, vcc, v2, v5, vcc
	global_store_dword v[1:2], v3, off
	v_and_or_b32 v3, v10, s6, v9
	v_cmp_ne_u32_e32 vcc, 0, v3
	v_cndmask_b32_e64 v3, 0, 1, vcc
	v_lshrrev_b32_e32 v5, 8, v10
	v_bfe_u32 v7, v10, 20, 11
	v_and_or_b32 v5, v5, s7, v3
	v_sub_u32_e32 v9, 0x3f1, v7
	v_or_b32_e32 v3, 0x1000, v5
	v_med3_i32 v9, v9, 0, 13
	v_lshrrev_b32_e32 v12, v9, v3
	v_lshlrev_b32_e32 v9, v9, v12
	v_mul_f16_sdwa v4, v92, v4 dst_sel:DWORD dst_unused:UNUSED_PAD src0_sel:WORD_1 src1_sel:DWORD
	v_cmp_ne_u32_e32 vcc, v9, v3
	v_fma_f16 v4, v92, v11, -v4
	v_cndmask_b32_e64 v3, 0, 1, vcc
	v_add_u32_e32 v7, 0xfffffc10, v7
	v_cvt_f32_f16_e32 v4, v4
	v_or_b32_e32 v3, v12, v3
	v_lshl_or_b32 v9, v7, 12, v5
	v_cmp_gt_i32_e32 vcc, 1, v7
	v_cndmask_b32_e32 v3, v9, v3, vcc
	v_and_b32_e32 v9, 7, v3
	v_cmp_lt_i32_e32 vcc, 5, v9
	v_cmp_eq_u32_e64 s[0:1], 3, v9
	v_lshrrev_b32_e32 v9, 2, v3
	v_cvt_f64_f32_e32 v[3:4], v4
	s_or_b64 vcc, s[0:1], vcc
	v_addc_co_u32_e32 v9, vcc, 0, v9, vcc
	v_mul_f64 v[3:4], v[3:4], s[2:3]
	v_cmp_gt_i32_e32 vcc, 31, v7
	v_cndmask_b32_e32 v9, v0, v9, vcc
	v_cmp_ne_u32_e32 vcc, 0, v5
	v_cndmask_b32_e64 v5, 0, 1, vcc
	v_lshl_or_b32 v5, v5, 9, v0
	v_cmp_eq_u32_e32 vcc, s10, v7
	v_cndmask_b32_e32 v5, v9, v5, vcc
	v_and_or_b32 v3, v4, s6, v3
	v_lshrrev_b32_e32 v7, 16, v10
	v_cmp_ne_u32_e32 vcc, 0, v3
	v_and_or_b32 v5, v7, s11, v5
	v_cndmask_b32_e64 v3, 0, 1, vcc
	v_lshrrev_b32_e32 v7, 8, v4
	v_bfe_u32 v9, v4, 20, 11
	v_and_or_b32 v3, v7, s7, v3
	v_sub_u32_e32 v10, 0x3f1, v9
	v_or_b32_e32 v7, 0x1000, v3
	v_med3_i32 v10, v10, 0, 13
	v_lshrrev_b32_e32 v11, v10, v7
	v_lshlrev_b32_e32 v10, v10, v11
	v_cmp_ne_u32_e32 vcc, v10, v7
	v_cndmask_b32_e64 v7, 0, 1, vcc
	v_add_u32_e32 v9, 0xfffffc10, v9
	v_or_b32_e32 v7, v11, v7
	v_lshl_or_b32 v10, v9, 12, v3
	v_cmp_gt_i32_e32 vcc, 1, v9
	v_cndmask_b32_e32 v7, v10, v7, vcc
	v_and_b32_e32 v10, 7, v7
	v_lshrrev_b32_e32 v11, 16, v6
	v_cmp_lt_i32_e32 vcc, 5, v10
	v_cmp_eq_u32_e64 s[0:1], 3, v10
	v_mul_f16_sdwa v10, v93, v11 dst_sel:DWORD dst_unused:UNUSED_PAD src0_sel:WORD_1 src1_sel:DWORD
	v_fma_f16 v10, v93, v6, v10
	v_lshrrev_b32_e32 v7, 2, v7
	s_or_b64 vcc, s[0:1], vcc
	v_cvt_f32_f16_e32 v10, v10
	v_addc_co_u32_e32 v7, vcc, 0, v7, vcc
	v_cmp_gt_i32_e32 vcc, 31, v9
	v_cndmask_b32_e32 v7, v0, v7, vcc
	v_cmp_ne_u32_e32 vcc, 0, v3
	v_cndmask_b32_e64 v3, 0, 1, vcc
	v_cmp_eq_u32_e32 vcc, s10, v9
	v_cvt_f64_f32_e32 v[9:10], v10
	v_lshl_or_b32 v3, v3, 9, v0
	v_cndmask_b32_e32 v3, v7, v3, vcc
	v_lshrrev_b32_e32 v4, 16, v4
	v_and_or_b32 v7, v4, s11, v3
	v_mul_f64 v[3:4], v[9:10], s[2:3]
	v_and_b32_e32 v5, 0xffff, v5
	v_lshl_or_b32 v5, v7, 16, v5
	v_mov_b32_e32 v7, s9
	v_add_co_u32_e32 v1, vcc, s8, v1
	v_addc_co_u32_e32 v2, vcc, v2, v7, vcc
	v_and_or_b32 v3, v4, s6, v3
	v_cmp_ne_u32_e32 vcc, 0, v3
	global_store_dword v[1:2], v5, off
	v_cndmask_b32_e64 v3, 0, 1, vcc
	v_lshrrev_b32_e32 v5, 8, v4
	v_bfe_u32 v7, v4, 20, 11
	v_and_or_b32 v3, v5, s7, v3
	v_sub_u32_e32 v9, 0x3f1, v7
	v_or_b32_e32 v5, 0x1000, v3
	v_med3_i32 v9, v9, 0, 13
	v_lshrrev_b32_e32 v10, v9, v5
	v_lshlrev_b32_e32 v9, v9, v10
	v_mul_f16_sdwa v6, v93, v6 dst_sel:DWORD dst_unused:UNUSED_PAD src0_sel:WORD_1 src1_sel:DWORD
	v_cmp_ne_u32_e32 vcc, v9, v5
	v_fma_f16 v6, v93, v11, -v6
	v_cndmask_b32_e64 v5, 0, 1, vcc
	v_add_u32_e32 v7, 0xfffffc10, v7
	v_cvt_f32_f16_e32 v6, v6
	v_or_b32_e32 v5, v10, v5
	v_lshl_or_b32 v9, v7, 12, v3
	v_cmp_gt_i32_e32 vcc, 1, v7
	v_cndmask_b32_e32 v5, v9, v5, vcc
	v_and_b32_e32 v9, 7, v5
	v_cmp_lt_i32_e32 vcc, 5, v9
	v_cmp_eq_u32_e64 s[0:1], 3, v9
	v_lshrrev_b32_e32 v9, 2, v5
	v_cvt_f64_f32_e32 v[5:6], v6
	s_or_b64 vcc, s[0:1], vcc
	v_addc_co_u32_e32 v9, vcc, 0, v9, vcc
	v_mul_f64 v[5:6], v[5:6], s[2:3]
	v_cmp_gt_i32_e32 vcc, 31, v7
	v_cndmask_b32_e32 v9, v0, v9, vcc
	v_cmp_ne_u32_e32 vcc, 0, v3
	v_cndmask_b32_e64 v3, 0, 1, vcc
	v_lshl_or_b32 v3, v3, 9, v0
	v_cmp_eq_u32_e32 vcc, s10, v7
	v_cndmask_b32_e32 v3, v9, v3, vcc
	v_lshrrev_b32_e32 v4, 16, v4
	v_and_or_b32 v7, v4, s11, v3
	v_and_or_b32 v3, v6, s6, v5
	v_cmp_ne_u32_e32 vcc, 0, v3
	v_cndmask_b32_e64 v3, 0, 1, vcc
	v_lshrrev_b32_e32 v4, 8, v6
	v_bfe_u32 v5, v6, 20, 11
	v_and_or_b32 v3, v4, s7, v3
	v_sub_u32_e32 v9, 0x3f1, v5
	v_or_b32_e32 v4, 0x1000, v3
	v_med3_i32 v9, v9, 0, 13
	v_lshrrev_b32_e32 v10, v9, v4
	v_lshlrev_b32_e32 v9, v9, v10
	v_cmp_ne_u32_e32 vcc, v9, v4
	v_cndmask_b32_e64 v4, 0, 1, vcc
	v_add_u32_e32 v5, 0xfffffc10, v5
	v_or_b32_e32 v4, v10, v4
	v_lshl_or_b32 v9, v5, 12, v3
	v_cmp_gt_i32_e32 vcc, 1, v5
	v_cndmask_b32_e32 v4, v9, v4, vcc
	v_and_b32_e32 v9, 7, v4
	v_cmp_lt_i32_e32 vcc, 5, v9
	v_cmp_eq_u32_e64 s[0:1], 3, v9
	v_lshrrev_b32_e32 v9, 16, v8
	v_lshrrev_b32_e32 v4, 2, v4
	s_or_b64 vcc, s[0:1], vcc
	v_mul_f16_sdwa v10, v91, v9 dst_sel:DWORD dst_unused:UNUSED_PAD src0_sel:WORD_1 src1_sel:DWORD
	v_addc_co_u32_e32 v4, vcc, 0, v4, vcc
	v_fma_f16 v10, v91, v8, v10
	v_cmp_gt_i32_e32 vcc, 31, v5
	v_cvt_f32_f16_e32 v10, v10
	v_cndmask_b32_e32 v4, v0, v4, vcc
	v_cmp_ne_u32_e32 vcc, 0, v3
	v_cndmask_b32_e64 v3, 0, 1, vcc
	v_lshl_or_b32 v3, v3, 9, v0
	v_cmp_eq_u32_e32 vcc, s10, v5
	v_cndmask_b32_e32 v5, v4, v3, vcc
	v_cvt_f64_f32_e32 v[3:4], v10
	v_lshrrev_b32_e32 v6, 16, v6
	v_and_or_b32 v5, v6, s11, v5
	v_and_b32_e32 v6, 0xffff, v7
	v_mul_f64 v[3:4], v[3:4], s[2:3]
	v_lshl_or_b32 v5, v5, 16, v6
	v_mov_b32_e32 v6, s4
	v_add_co_u32_e32 v1, vcc, s5, v1
	v_addc_co_u32_e32 v2, vcc, v2, v6, vcc
	global_store_dword v[1:2], v5, off
	v_and_or_b32 v3, v4, s6, v3
	v_cmp_ne_u32_e32 vcc, 0, v3
	v_cndmask_b32_e64 v3, 0, 1, vcc
	v_lshrrev_b32_e32 v5, 8, v4
	v_bfe_u32 v6, v4, 20, 11
	v_and_or_b32 v3, v5, s7, v3
	v_sub_u32_e32 v7, 0x3f1, v6
	v_or_b32_e32 v5, 0x1000, v3
	v_med3_i32 v7, v7, 0, 13
	v_lshrrev_b32_e32 v10, v7, v5
	v_lshlrev_b32_e32 v7, v7, v10
	v_mul_f16_sdwa v8, v91, v8 dst_sel:DWORD dst_unused:UNUSED_PAD src0_sel:WORD_1 src1_sel:DWORD
	v_cmp_ne_u32_e32 vcc, v7, v5
	v_fma_f16 v8, v91, v9, -v8
	v_cndmask_b32_e64 v5, 0, 1, vcc
	v_add_u32_e32 v7, 0xfffffc10, v6
	v_cvt_f32_f16_e32 v8, v8
	v_or_b32_e32 v5, v10, v5
	v_lshl_or_b32 v6, v7, 12, v3
	v_cmp_gt_i32_e32 vcc, 1, v7
	v_cndmask_b32_e32 v5, v6, v5, vcc
	v_and_b32_e32 v6, 7, v5
	v_cmp_lt_i32_e32 vcc, 5, v6
	v_cmp_eq_u32_e64 s[0:1], 3, v6
	v_lshrrev_b32_e32 v9, 2, v5
	v_cvt_f64_f32_e32 v[5:6], v8
	s_or_b64 vcc, s[0:1], vcc
	v_addc_co_u32_e32 v8, vcc, 0, v9, vcc
	v_mul_f64 v[5:6], v[5:6], s[2:3]
	v_cmp_gt_i32_e32 vcc, 31, v7
	v_cndmask_b32_e32 v8, v0, v8, vcc
	v_cmp_ne_u32_e32 vcc, 0, v3
	v_cndmask_b32_e64 v3, 0, 1, vcc
	v_lshl_or_b32 v3, v3, 9, v0
	v_cmp_eq_u32_e32 vcc, s10, v7
	v_cndmask_b32_e32 v3, v8, v3, vcc
	v_lshrrev_b32_e32 v4, 16, v4
	v_and_or_b32 v3, v4, s11, v3
	v_and_or_b32 v4, v6, s6, v5
	v_cmp_ne_u32_e32 vcc, 0, v4
	v_cndmask_b32_e64 v4, 0, 1, vcc
	v_lshrrev_b32_e32 v5, 8, v6
	v_bfe_u32 v7, v6, 20, 11
	v_and_or_b32 v4, v5, s7, v4
	v_sub_u32_e32 v8, 0x3f1, v7
	v_or_b32_e32 v5, 0x1000, v4
	v_med3_i32 v8, v8, 0, 13
	v_lshrrev_b32_e32 v9, v8, v5
	v_lshlrev_b32_e32 v8, v8, v9
	v_cmp_ne_u32_e32 vcc, v8, v5
	v_cndmask_b32_e64 v5, 0, 1, vcc
	v_add_u32_e32 v7, 0xfffffc10, v7
	v_or_b32_e32 v5, v9, v5
	v_lshl_or_b32 v8, v7, 12, v4
	v_cmp_gt_i32_e32 vcc, 1, v7
	v_cndmask_b32_e32 v5, v8, v5, vcc
	v_and_b32_e32 v8, 7, v5
	v_cmp_lt_i32_e32 vcc, 5, v8
	v_cmp_eq_u32_e64 s[0:1], 3, v8
	v_lshrrev_b32_e32 v5, 2, v5
	s_or_b64 vcc, s[0:1], vcc
	v_addc_co_u32_e32 v5, vcc, 0, v5, vcc
	v_cmp_gt_i32_e32 vcc, 31, v7
	v_cndmask_b32_e32 v5, v0, v5, vcc
	v_cmp_ne_u32_e32 vcc, 0, v4
	v_cndmask_b32_e64 v4, 0, 1, vcc
	v_lshl_or_b32 v0, v4, 9, v0
	v_cmp_eq_u32_e32 vcc, s10, v7
	v_cndmask_b32_e32 v0, v5, v0, vcc
	v_lshrrev_b32_e32 v4, 16, v6
	v_and_or_b32 v0, v4, s11, v0
	v_and_b32_e32 v3, 0xffff, v3
	v_lshl_or_b32 v3, v0, 16, v3
	v_mov_b32_e32 v4, s4
	v_add_co_u32_e32 v0, vcc, s5, v1
	v_addc_co_u32_e32 v1, vcc, v2, v4, vcc
	global_store_dword v[0:1], v3, off
.LBB0_2:
	s_endpgm
	.section	.rodata,"a",@progbits
	.p2align	6, 0x0
	.amdhsa_kernel bluestein_single_back_len2700_dim1_half_op_CI_CI
		.amdhsa_group_segment_fixed_size 10800
		.amdhsa_private_segment_fixed_size 0
		.amdhsa_kernarg_size 104
		.amdhsa_user_sgpr_count 6
		.amdhsa_user_sgpr_private_segment_buffer 1
		.amdhsa_user_sgpr_dispatch_ptr 0
		.amdhsa_user_sgpr_queue_ptr 0
		.amdhsa_user_sgpr_kernarg_segment_ptr 1
		.amdhsa_user_sgpr_dispatch_id 0
		.amdhsa_user_sgpr_flat_scratch_init 0
		.amdhsa_user_sgpr_private_segment_size 0
		.amdhsa_uses_dynamic_stack 0
		.amdhsa_system_sgpr_private_segment_wavefront_offset 0
		.amdhsa_system_sgpr_workgroup_id_x 1
		.amdhsa_system_sgpr_workgroup_id_y 0
		.amdhsa_system_sgpr_workgroup_id_z 0
		.amdhsa_system_sgpr_workgroup_info 0
		.amdhsa_system_vgpr_workitem_id 0
		.amdhsa_next_free_vgpr 215
		.amdhsa_next_free_sgpr 20
		.amdhsa_reserve_vcc 1
		.amdhsa_reserve_flat_scratch 0
		.amdhsa_float_round_mode_32 0
		.amdhsa_float_round_mode_16_64 0
		.amdhsa_float_denorm_mode_32 3
		.amdhsa_float_denorm_mode_16_64 3
		.amdhsa_dx10_clamp 1
		.amdhsa_ieee_mode 1
		.amdhsa_fp16_overflow 0
		.amdhsa_exception_fp_ieee_invalid_op 0
		.amdhsa_exception_fp_denorm_src 0
		.amdhsa_exception_fp_ieee_div_zero 0
		.amdhsa_exception_fp_ieee_overflow 0
		.amdhsa_exception_fp_ieee_underflow 0
		.amdhsa_exception_fp_ieee_inexact 0
		.amdhsa_exception_int_div_zero 0
	.end_amdhsa_kernel
	.text
.Lfunc_end0:
	.size	bluestein_single_back_len2700_dim1_half_op_CI_CI, .Lfunc_end0-bluestein_single_back_len2700_dim1_half_op_CI_CI
                                        ; -- End function
	.section	.AMDGPU.csdata,"",@progbits
; Kernel info:
; codeLenInByte = 48728
; NumSgprs: 24
; NumVgprs: 215
; ScratchSize: 0
; MemoryBound: 0
; FloatMode: 240
; IeeeMode: 1
; LDSByteSize: 10800 bytes/workgroup (compile time only)
; SGPRBlocks: 2
; VGPRBlocks: 53
; NumSGPRsForWavesPerEU: 24
; NumVGPRsForWavesPerEU: 215
; Occupancy: 1
; WaveLimiterHint : 1
; COMPUTE_PGM_RSRC2:SCRATCH_EN: 0
; COMPUTE_PGM_RSRC2:USER_SGPR: 6
; COMPUTE_PGM_RSRC2:TRAP_HANDLER: 0
; COMPUTE_PGM_RSRC2:TGID_X_EN: 1
; COMPUTE_PGM_RSRC2:TGID_Y_EN: 0
; COMPUTE_PGM_RSRC2:TGID_Z_EN: 0
; COMPUTE_PGM_RSRC2:TIDIG_COMP_CNT: 0
	.type	__hip_cuid_d53e9ca05b21a419,@object ; @__hip_cuid_d53e9ca05b21a419
	.section	.bss,"aw",@nobits
	.globl	__hip_cuid_d53e9ca05b21a419
__hip_cuid_d53e9ca05b21a419:
	.byte	0                               ; 0x0
	.size	__hip_cuid_d53e9ca05b21a419, 1

	.ident	"AMD clang version 19.0.0git (https://github.com/RadeonOpenCompute/llvm-project roc-6.4.0 25133 c7fe45cf4b819c5991fe208aaa96edf142730f1d)"
	.section	".note.GNU-stack","",@progbits
	.addrsig
	.addrsig_sym __hip_cuid_d53e9ca05b21a419
	.amdgpu_metadata
---
amdhsa.kernels:
  - .args:
      - .actual_access:  read_only
        .address_space:  global
        .offset:         0
        .size:           8
        .value_kind:     global_buffer
      - .actual_access:  read_only
        .address_space:  global
        .offset:         8
        .size:           8
        .value_kind:     global_buffer
      - .actual_access:  read_only
        .address_space:  global
        .offset:         16
        .size:           8
        .value_kind:     global_buffer
      - .actual_access:  read_only
        .address_space:  global
        .offset:         24
        .size:           8
        .value_kind:     global_buffer
      - .actual_access:  read_only
        .address_space:  global
        .offset:         32
        .size:           8
        .value_kind:     global_buffer
      - .offset:         40
        .size:           8
        .value_kind:     by_value
      - .address_space:  global
        .offset:         48
        .size:           8
        .value_kind:     global_buffer
      - .address_space:  global
        .offset:         56
        .size:           8
        .value_kind:     global_buffer
      - .address_space:  global
        .offset:         64
        .size:           8
        .value_kind:     global_buffer
      - .address_space:  global
        .offset:         72
        .size:           8
        .value_kind:     global_buffer
      - .offset:         80
        .size:           4
        .value_kind:     by_value
      - .address_space:  global
        .offset:         88
        .size:           8
        .value_kind:     global_buffer
      - .address_space:  global
        .offset:         96
        .size:           8
        .value_kind:     global_buffer
    .group_segment_fixed_size: 10800
    .kernarg_segment_align: 8
    .kernarg_segment_size: 104
    .language:       OpenCL C
    .language_version:
      - 2
      - 0
    .max_flat_workgroup_size: 90
    .name:           bluestein_single_back_len2700_dim1_half_op_CI_CI
    .private_segment_fixed_size: 0
    .sgpr_count:     24
    .sgpr_spill_count: 0
    .symbol:         bluestein_single_back_len2700_dim1_half_op_CI_CI.kd
    .uniform_work_group_size: 1
    .uses_dynamic_stack: false
    .vgpr_count:     215
    .vgpr_spill_count: 0
    .wavefront_size: 64
amdhsa.target:   amdgcn-amd-amdhsa--gfx906
amdhsa.version:
  - 1
  - 2
...

	.end_amdgpu_metadata
